;; amdgpu-corpus repo=FlagOpen/FlagGems kind=triton arch=gfx950 opt=O3 lang=triton
	.amdgcn_target "amdgcn-amd-amdhsa--gfx950"
	.amdhsa_code_object_version 5
	.text
	.globl	group_norm_kernel               ; -- Begin function group_norm_kernel
	.p2align	8
	.type	group_norm_kernel,@function
group_norm_kernel:                      ; @group_norm_kernel
.Lfunc_begin0:
	.cfi_sections .debug_frame
	.cfi_startproc
; %bb.527:
	.file	1 "/root/src/amdgpu-assembly/repos/FlagOpen__FlagGems/triton_aot_kernels" "groupnorm_aot.py"
	.loc	1 11 0 prologue_end             ; groupnorm_aot.py:11:0
	s_load_dwordx2 s[2:3], s[0:1], 0x0
	s_load_dwordx8 s[4:11], s[0:1], 0x8
	s_load_dwordx4 s[12:15], s[0:1], 0x28
	s_waitcnt lgkmcnt(0)
	s_branch .LBB0_0
	.loc	1 0 0 is_stmt 0                 ; :0:0
.Ltmp0:
	.p2align	8
; %bb.528:
.LBB0_0:
                                        ; implicit-def: $vgpr253 : SGPR spill to VGPR lane
.Ltmp1:
	.loc	1 27 18 is_stmt 1               ; groupnorm_aot.py:27:18
	s_ashr_i32 s17, s16, 31
	v_writelane_b32 v253, s12, 0
	.loc	1 64 23                         ; groupnorm_aot.py:64:23
	v_readfirstlane_b32 s88, v0
	.loc	1 35 76                         ; groupnorm_aot.py:35:76
	v_and_b32_e32 v34, 63, v0
	v_writelane_b32 v253, s13, 1
	v_writelane_b32 v253, s10, 2
	.loc	1 44 20                         ; groupnorm_aot.py:44:20
	v_mov_b32_e32 v130, 0
	v_mov_b32_e32 v131, v130
	v_writelane_b32 v253, s11, 3
	v_writelane_b32 v253, s8, 4
	s_nop 1
	v_writelane_b32 v253, s9, 5
	v_writelane_b32 v253, s6, 6
	s_nop 1
	v_writelane_b32 v253, s7, 7
	v_writelane_b32 v253, s0, 8
	.loc	1 27 18                         ; groupnorm_aot.py:27:18
	s_abs_i32 s6, s16
	s_nop 0
	v_writelane_b32 v253, s1, 9
	s_load_dwordx2 s[0:1], s[0:1], 0x38
	s_waitcnt lgkmcnt(0)
	s_abs_i32 s1, s1
	v_cvt_f32_u32_e32 v1, s1
	s_sub_i32 s7, 0, s1
	.loc	1 28 32                         ; groupnorm_aot.py:28:32
	s_mul_i32 s33, s0, s14
	.loc	1 27 18                         ; groupnorm_aot.py:27:18
	v_rcp_iflag_f32_e32 v1, v1
	s_nop 0
	v_mul_f32_e32 v1, 0x4f7ffffe, v1
	v_cvt_u32_f32_e32 v1, v1
	s_nop 0
	v_readfirstlane_b32 s8, v1
	s_mul_i32 s7, s7, s8
	s_mul_hi_u32 s7, s8, s7
	s_add_i32 s8, s8, s7
	s_mul_hi_u32 s7, s6, s8
	s_mul_i32 s7, s7, s1
	s_sub_i32 s6, s6, s7
	s_sub_i32 s7, s6, s1
	s_cmp_ge_u32 s6, s1
	s_cselect_b32 s6, s7, s6
	s_sub_i32 s7, s6, s1
	s_cmp_ge_u32 s6, s1
	s_cselect_b32 s1, s7, s6
	s_xor_b32 s1, s1, s17
	s_sub_i32 s1, s1, s17
	.loc	1 32 24                         ; groupnorm_aot.py:32:24
	s_mul_i32 s1, s1, s14
	.loc	1 33 26                         ; groupnorm_aot.py:33:26
	s_cmp_lt_i32 s1, s15
	s_cselect_b64 s[8:9], -1, 0
	v_writelane_b32 v253, s16, 10
	.loc	1 35 76                         ; groupnorm_aot.py:35:76
	s_and_b32 s7, s88, 0xc0
	.loc	1 35 22 is_stmt 0               ; groupnorm_aot.py:35:22
	s_mul_i32 s6, s33, s16
	v_writelane_b32 v253, s17, 11
	.loc	1 35 76                         ; groupnorm_aot.py:35:76
	v_or_b32_e32 v1, s7, v34
	.loc	1 35 66                         ; groupnorm_aot.py:35:66
	v_add_u32_e32 v2, s6, v1
	v_writelane_b32 v253, s8, 12
	.loc	1 36 62 is_stmt 1               ; groupnorm_aot.py:36:62
	v_cmp_gt_i32_e32 vcc, s0, v1
	.loc	1 42 16                         ; groupnorm_aot.py:42:16
	v_ashrrev_i32_e32 v3, 31, v2
	v_writelane_b32 v253, s9, 13
	.loc	1 36 41                         ; groupnorm_aot.py:36:41
	s_and_b64 s[8:9], s[8:9], vcc
	.loc	1 44 20                         ; groupnorm_aot.py:44:20
	s_mov_b64 s[6:7], exec
	v_writelane_b32 v253, s8, 14
	s_nop 1
	v_writelane_b32 v253, s9, 15
	s_and_b64 s[8:9], s[6:7], s[8:9]
	s_mov_b64 exec, s[8:9]
	s_cbranch_execz .LBB0_2
; %bb.1:
	.loc	1 0 20 is_stmt 0                ; groupnorm_aot.py:0:20
	v_lshl_add_u64 v[4:5], v[2:3], 2, s[2:3]
	.loc	1 44 20                         ; groupnorm_aot.py:44:20
	global_load_dword v131, v[4:5], off
.LBB0_2:
	.loc	1 0 20                          ; groupnorm_aot.py:0:20
	s_or_b64 exec, exec, s[6:7]
	.loc	1 32 37 is_stmt 1               ; groupnorm_aot.py:32:37
	s_add_i32 s14, s1, 1
	.loc	1 33 26                         ; groupnorm_aot.py:33:26
	s_cmp_lt_i32 s14, s15
	s_cselect_b64 s[6:7], -1, 0
	.loc	1 35 66                         ; groupnorm_aot.py:35:66
	v_add_u32_e32 v36, s0, v2
	v_writelane_b32 v253, s6, 16
	.loc	1 41 16                         ; groupnorm_aot.py:41:16
	v_ashrrev_i32_e32 v37, 31, v36
	.loc	1 36 41                         ; groupnorm_aot.py:36:41
	s_and_b64 s[8:9], vcc, s[6:7]
	v_writelane_b32 v253, s7, 17
	.loc	1 44 20                         ; groupnorm_aot.py:44:20
	s_mov_b64 s[6:7], exec
	v_writelane_b32 v253, s8, 18
	s_nop 1
	v_writelane_b32 v253, s9, 19
	s_and_b64 s[8:9], s[6:7], s[8:9]
	s_mov_b64 exec, s[8:9]
	s_cbranch_execz .LBB0_4
; %bb.3:
	.loc	1 41 16                         ; groupnorm_aot.py:41:16
	v_lshl_add_u64 v[4:5], v[36:37], 2, s[2:3]
	.loc	1 44 20                         ; groupnorm_aot.py:44:20
	global_load_dword v130, v[4:5], off
.LBB0_4:
	.loc	1 0 20 is_stmt 0                ; groupnorm_aot.py:0:20
	s_or_b64 exec, exec, s[6:7]
	.loc	1 32 37 is_stmt 1               ; groupnorm_aot.py:32:37
	s_add_i32 s6, s1, 2
	.loc	1 33 26                         ; groupnorm_aot.py:33:26
	s_cmp_lt_i32 s6, s15
	s_cselect_b64 s[6:7], -1, 0
	.loc	1 35 66                         ; groupnorm_aot.py:35:66
	v_lshl_add_u32 v196, s0, 1, v2
	v_writelane_b32 v253, s6, 20
	.loc	1 44 20                         ; groupnorm_aot.py:44:20
	v_mov_b32_e32 v132, 0
	.loc	1 41 16                         ; groupnorm_aot.py:41:16
	v_ashrrev_i32_e32 v197, 31, v196
	v_writelane_b32 v253, s7, 21
	v_mov_b32_e32 v133, v132
	.loc	1 36 41                         ; groupnorm_aot.py:36:41
	s_and_b64 s[8:9], vcc, s[6:7]
	.loc	1 44 20                         ; groupnorm_aot.py:44:20
	s_mov_b64 s[6:7], exec
	v_writelane_b32 v253, s8, 22
	s_nop 1
	v_writelane_b32 v253, s9, 23
	s_and_b64 s[8:9], s[6:7], s[8:9]
	s_mov_b64 exec, s[8:9]
	s_cbranch_execz .LBB0_6
; %bb.5:
	.loc	1 41 16                         ; groupnorm_aot.py:41:16
	v_lshl_add_u64 v[4:5], v[196:197], 2, s[2:3]
	.loc	1 44 20                         ; groupnorm_aot.py:44:20
	global_load_dword v133, v[4:5], off
.LBB0_6:
	.loc	1 0 20 is_stmt 0                ; groupnorm_aot.py:0:20
	s_or_b64 exec, exec, s[6:7]
	.loc	1 32 37 is_stmt 1               ; groupnorm_aot.py:32:37
	s_add_i32 s6, s1, 3
	.loc	1 33 26                         ; groupnorm_aot.py:33:26
	s_cmp_lt_i32 s6, s15
	s_cselect_b64 s[8:9], -1, 0
	.loc	1 35 66                         ; groupnorm_aot.py:35:66
	v_mad_u64_u32 v[198:199], s[6:7], s0, 3, v[2:3]
	v_writelane_b32 v253, s8, 24
	.loc	1 41 16                         ; groupnorm_aot.py:41:16
	v_ashrrev_i32_e32 v199, 31, v198
	s_nop 0
	v_writelane_b32 v253, s9, 25
	.loc	1 36 41                         ; groupnorm_aot.py:36:41
	s_and_b64 s[8:9], vcc, s[8:9]
	.loc	1 44 20                         ; groupnorm_aot.py:44:20
	s_mov_b64 s[6:7], exec
	v_writelane_b32 v253, s8, 26
	s_nop 1
	v_writelane_b32 v253, s9, 27
	s_and_b64 s[8:9], s[6:7], s[8:9]
	s_mov_b64 exec, s[8:9]
	s_cbranch_execz .LBB0_8
; %bb.7:
	.loc	1 41 16                         ; groupnorm_aot.py:41:16
	v_lshl_add_u64 v[4:5], v[198:199], 2, s[2:3]
	.loc	1 44 20                         ; groupnorm_aot.py:44:20
	global_load_dword v132, v[4:5], off
.LBB0_8:
	.loc	1 0 20 is_stmt 0                ; groupnorm_aot.py:0:20
	s_or_b64 exec, exec, s[6:7]
	.loc	1 32 37 is_stmt 1               ; groupnorm_aot.py:32:37
	s_add_i32 s6, s1, 4
	.loc	1 33 26                         ; groupnorm_aot.py:33:26
	s_cmp_lt_i32 s6, s15
	s_cselect_b64 s[6:7], -1, 0
	.loc	1 35 66                         ; groupnorm_aot.py:35:66
	v_lshl_add_u32 v200, s0, 2, v2
	v_writelane_b32 v253, s6, 28
	.loc	1 44 20                         ; groupnorm_aot.py:44:20
	v_mov_b32_e32 v134, 0
	.loc	1 41 16                         ; groupnorm_aot.py:41:16
	v_ashrrev_i32_e32 v201, 31, v200
	v_writelane_b32 v253, s7, 29
	v_mov_b32_e32 v135, v134
	.loc	1 36 41                         ; groupnorm_aot.py:36:41
	s_and_b64 s[8:9], vcc, s[6:7]
	.loc	1 44 20                         ; groupnorm_aot.py:44:20
	s_mov_b64 s[6:7], exec
	v_writelane_b32 v253, s8, 30
	s_nop 1
	v_writelane_b32 v253, s9, 31
	s_and_b64 s[8:9], s[6:7], s[8:9]
	s_mov_b64 exec, s[8:9]
	s_cbranch_execz .LBB0_10
; %bb.9:
	.loc	1 41 16                         ; groupnorm_aot.py:41:16
	v_lshl_add_u64 v[4:5], v[200:201], 2, s[2:3]
	.loc	1 44 20                         ; groupnorm_aot.py:44:20
	global_load_dword v135, v[4:5], off
.LBB0_10:
	.loc	1 0 20 is_stmt 0                ; groupnorm_aot.py:0:20
	s_or_b64 exec, exec, s[6:7]
	.loc	1 32 37 is_stmt 1               ; groupnorm_aot.py:32:37
	s_add_i32 s6, s1, 5
	.loc	1 33 26                         ; groupnorm_aot.py:33:26
	s_cmp_lt_i32 s6, s15
	s_cselect_b64 s[8:9], -1, 0
	.loc	1 35 66                         ; groupnorm_aot.py:35:66
	v_mad_u64_u32 v[202:203], s[6:7], s0, 5, v[2:3]
	v_writelane_b32 v253, s8, 32
	.loc	1 41 16                         ; groupnorm_aot.py:41:16
	v_ashrrev_i32_e32 v203, 31, v202
	s_nop 0
	v_writelane_b32 v253, s9, 33
	.loc	1 36 41                         ; groupnorm_aot.py:36:41
	s_and_b64 s[8:9], vcc, s[8:9]
	.loc	1 44 20                         ; groupnorm_aot.py:44:20
	s_mov_b64 s[6:7], exec
	v_writelane_b32 v253, s8, 34
	s_nop 1
	v_writelane_b32 v253, s9, 35
	s_and_b64 s[8:9], s[6:7], s[8:9]
	s_mov_b64 exec, s[8:9]
	s_cbranch_execz .LBB0_12
; %bb.11:
	.loc	1 41 16                         ; groupnorm_aot.py:41:16
	v_lshl_add_u64 v[4:5], v[202:203], 2, s[2:3]
	.loc	1 44 20                         ; groupnorm_aot.py:44:20
	global_load_dword v134, v[4:5], off
.LBB0_12:
	.loc	1 0 20 is_stmt 0                ; groupnorm_aot.py:0:20
	s_or_b64 exec, exec, s[6:7]
	.loc	1 32 37 is_stmt 1               ; groupnorm_aot.py:32:37
	s_add_i32 s6, s1, 6
	.loc	1 33 26                         ; groupnorm_aot.py:33:26
	s_cmp_lt_i32 s6, s15
	s_cselect_b64 s[8:9], -1, 0
	.loc	1 35 66                         ; groupnorm_aot.py:35:66
	v_mad_u64_u32 v[204:205], s[6:7], s0, 6, v[2:3]
	v_writelane_b32 v253, s8, 36
	.loc	1 44 20                         ; groupnorm_aot.py:44:20
	v_mov_b32_e32 v136, 0
	.loc	1 41 16                         ; groupnorm_aot.py:41:16
	v_ashrrev_i32_e32 v205, 31, v204
	v_writelane_b32 v253, s9, 37
	v_mov_b32_e32 v137, v136
	.loc	1 36 41                         ; groupnorm_aot.py:36:41
	s_and_b64 s[8:9], vcc, s[8:9]
	.loc	1 44 20                         ; groupnorm_aot.py:44:20
	s_mov_b64 s[6:7], exec
	v_writelane_b32 v253, s8, 38
	s_nop 1
	v_writelane_b32 v253, s9, 39
	s_and_b64 s[8:9], s[6:7], s[8:9]
	s_mov_b64 exec, s[8:9]
	s_cbranch_execz .LBB0_14
; %bb.13:
	.loc	1 41 16                         ; groupnorm_aot.py:41:16
	v_lshl_add_u64 v[4:5], v[204:205], 2, s[2:3]
	.loc	1 44 20                         ; groupnorm_aot.py:44:20
	global_load_dword v137, v[4:5], off
.LBB0_14:
	.loc	1 0 20 is_stmt 0                ; groupnorm_aot.py:0:20
	s_or_b64 exec, exec, s[6:7]
	.loc	1 32 37 is_stmt 1               ; groupnorm_aot.py:32:37
	s_add_i32 s6, s1, 7
	.loc	1 33 26                         ; groupnorm_aot.py:33:26
	s_cmp_lt_i32 s6, s15
	s_cselect_b64 s[8:9], -1, 0
	.loc	1 35 66                         ; groupnorm_aot.py:35:66
	v_mad_u64_u32 v[206:207], s[6:7], s0, 7, v[2:3]
	v_writelane_b32 v253, s8, 40
	.loc	1 41 16                         ; groupnorm_aot.py:41:16
	v_ashrrev_i32_e32 v207, 31, v206
	s_nop 0
	v_writelane_b32 v253, s9, 41
	.loc	1 36 41                         ; groupnorm_aot.py:36:41
	s_and_b64 s[8:9], vcc, s[8:9]
	.loc	1 44 20                         ; groupnorm_aot.py:44:20
	s_mov_b64 s[6:7], exec
	v_writelane_b32 v253, s8, 42
	s_nop 1
	v_writelane_b32 v253, s9, 43
	s_and_b64 s[8:9], s[6:7], s[8:9]
	s_mov_b64 exec, s[8:9]
	s_cbranch_execz .LBB0_16
; %bb.15:
	.loc	1 41 16                         ; groupnorm_aot.py:41:16
	v_lshl_add_u64 v[4:5], v[206:207], 2, s[2:3]
	.loc	1 44 20                         ; groupnorm_aot.py:44:20
	global_load_dword v136, v[4:5], off
.LBB0_16:
	.loc	1 0 20 is_stmt 0                ; groupnorm_aot.py:0:20
	s_or_b64 exec, exec, s[6:7]
	.loc	1 32 37 is_stmt 1               ; groupnorm_aot.py:32:37
	s_add_i32 s6, s1, 8
	.loc	1 33 26                         ; groupnorm_aot.py:33:26
	s_cmp_lt_i32 s6, s15
	s_cselect_b64 s[6:7], -1, 0
	.loc	1 35 66                         ; groupnorm_aot.py:35:66
	v_lshl_add_u32 v208, s0, 3, v2
	v_writelane_b32 v253, s6, 44
	.loc	1 44 20                         ; groupnorm_aot.py:44:20
	v_mov_b32_e32 v1, 0
	.loc	1 41 16                         ; groupnorm_aot.py:41:16
	v_ashrrev_i32_e32 v209, 31, v208
	v_writelane_b32 v253, s7, 45
	v_mov_b32_e32 v138, v1
	.loc	1 36 41                         ; groupnorm_aot.py:36:41
	s_and_b64 s[8:9], vcc, s[6:7]
	.loc	1 44 20                         ; groupnorm_aot.py:44:20
	s_mov_b64 s[6:7], exec
	v_writelane_b32 v253, s8, 46
	s_nop 1
	v_writelane_b32 v253, s9, 47
	s_and_b64 s[8:9], s[6:7], s[8:9]
	s_mov_b64 exec, s[8:9]
	s_cbranch_execz .LBB0_18
; %bb.17:
	.loc	1 41 16                         ; groupnorm_aot.py:41:16
	v_lshl_add_u64 v[4:5], v[208:209], 2, s[2:3]
	.loc	1 44 20                         ; groupnorm_aot.py:44:20
	global_load_dword v138, v[4:5], off
.LBB0_18:
	.loc	1 0 20 is_stmt 0                ; groupnorm_aot.py:0:20
	s_or_b64 exec, exec, s[6:7]
	.loc	1 32 37 is_stmt 1               ; groupnorm_aot.py:32:37
	s_add_i32 s6, s1, 9
	.loc	1 33 26                         ; groupnorm_aot.py:33:26
	s_cmp_lt_i32 s6, s15
	s_cselect_b64 s[8:9], -1, 0
	.loc	1 35 66                         ; groupnorm_aot.py:35:66
	v_mad_u64_u32 v[210:211], s[6:7], s0, 9, v[2:3]
	v_writelane_b32 v253, s8, 48
	.loc	1 41 16                         ; groupnorm_aot.py:41:16
	v_ashrrev_i32_e32 v211, 31, v210
	s_nop 0
	v_writelane_b32 v253, s9, 49
	.loc	1 36 41                         ; groupnorm_aot.py:36:41
	s_and_b64 s[8:9], vcc, s[8:9]
	.loc	1 44 20                         ; groupnorm_aot.py:44:20
	s_mov_b64 s[6:7], exec
	v_writelane_b32 v253, s8, 50
	s_nop 1
	v_writelane_b32 v253, s9, 51
	s_and_b64 s[8:9], s[6:7], s[8:9]
	s_mov_b64 exec, s[8:9]
	s_cbranch_execz .LBB0_20
; %bb.19:
	.loc	1 41 16                         ; groupnorm_aot.py:41:16
	v_lshl_add_u64 v[4:5], v[210:211], 2, s[2:3]
	.loc	1 44 20                         ; groupnorm_aot.py:44:20
	global_load_dword v1, v[4:5], off
.LBB0_20:
	.loc	1 0 20 is_stmt 0                ; groupnorm_aot.py:0:20
	s_or_b64 exec, exec, s[6:7]
	.loc	1 32 37 is_stmt 1               ; groupnorm_aot.py:32:37
	s_add_i32 s6, s1, 10
	.loc	1 33 26                         ; groupnorm_aot.py:33:26
	s_cmp_lt_i32 s6, s15
	s_cselect_b64 s[8:9], -1, 0
	.loc	1 35 66                         ; groupnorm_aot.py:35:66
	v_mad_u64_u32 v[212:213], s[6:7], s0, 10, v[2:3]
	v_writelane_b32 v253, s8, 52
	.loc	1 44 20                         ; groupnorm_aot.py:44:20
	v_mov_b32_e32 v139, 0
	.loc	1 41 16                         ; groupnorm_aot.py:41:16
	v_ashrrev_i32_e32 v213, 31, v212
	v_writelane_b32 v253, s9, 53
	v_mov_b32_e32 v140, v139
	.loc	1 36 41                         ; groupnorm_aot.py:36:41
	s_and_b64 s[8:9], vcc, s[8:9]
	.loc	1 44 20                         ; groupnorm_aot.py:44:20
	s_mov_b64 s[6:7], exec
	v_writelane_b32 v253, s8, 54
	s_nop 1
	v_writelane_b32 v253, s9, 55
	s_and_b64 s[8:9], s[6:7], s[8:9]
	s_mov_b64 exec, s[8:9]
	s_cbranch_execz .LBB0_22
; %bb.21:
	.loc	1 41 16                         ; groupnorm_aot.py:41:16
	v_lshl_add_u64 v[4:5], v[212:213], 2, s[2:3]
	.loc	1 44 20                         ; groupnorm_aot.py:44:20
	global_load_dword v140, v[4:5], off
.LBB0_22:
	.loc	1 0 20 is_stmt 0                ; groupnorm_aot.py:0:20
	s_or_b64 exec, exec, s[6:7]
	.loc	1 32 37 is_stmt 1               ; groupnorm_aot.py:32:37
	s_add_i32 s6, s1, 11
	.loc	1 33 26                         ; groupnorm_aot.py:33:26
	s_cmp_lt_i32 s6, s15
	s_cselect_b64 s[8:9], -1, 0
	.loc	1 35 66                         ; groupnorm_aot.py:35:66
	v_mad_u64_u32 v[216:217], s[6:7], s0, 11, v[2:3]
	v_writelane_b32 v253, s8, 56
	.loc	1 41 16                         ; groupnorm_aot.py:41:16
	v_ashrrev_i32_e32 v217, 31, v216
	s_nop 0
	v_writelane_b32 v253, s9, 57
	.loc	1 36 41                         ; groupnorm_aot.py:36:41
	s_and_b64 s[8:9], vcc, s[8:9]
	.loc	1 44 20                         ; groupnorm_aot.py:44:20
	s_mov_b64 s[6:7], exec
	v_writelane_b32 v253, s8, 58
	s_nop 1
	v_writelane_b32 v253, s9, 59
	s_and_b64 s[8:9], s[6:7], s[8:9]
	s_mov_b64 exec, s[8:9]
	s_cbranch_execz .LBB0_24
; %bb.23:
	.loc	1 41 16                         ; groupnorm_aot.py:41:16
	v_lshl_add_u64 v[4:5], v[216:217], 2, s[2:3]
	.loc	1 44 20                         ; groupnorm_aot.py:44:20
	global_load_dword v139, v[4:5], off
.LBB0_24:
	.loc	1 0 20 is_stmt 0                ; groupnorm_aot.py:0:20
	s_or_b64 exec, exec, s[6:7]
	.loc	1 32 37 is_stmt 1               ; groupnorm_aot.py:32:37
	s_add_i32 s6, s1, 12
	.loc	1 33 26                         ; groupnorm_aot.py:33:26
	s_cmp_lt_i32 s6, s15
	s_cselect_b64 s[8:9], -1, 0
	.loc	1 35 66                         ; groupnorm_aot.py:35:66
	v_mad_u64_u32 v[218:219], s[6:7], s0, 12, v[2:3]
	v_writelane_b32 v253, s8, 60
	.loc	1 44 20                         ; groupnorm_aot.py:44:20
	v_mov_b32_e32 v141, 0
	.loc	1 41 16                         ; groupnorm_aot.py:41:16
	v_ashrrev_i32_e32 v219, 31, v218
	v_writelane_b32 v253, s9, 61
	v_mov_b32_e32 v142, v141
	.loc	1 36 41                         ; groupnorm_aot.py:36:41
	s_and_b64 s[8:9], vcc, s[8:9]
	.loc	1 44 20                         ; groupnorm_aot.py:44:20
	s_mov_b64 s[6:7], exec
	v_writelane_b32 v253, s8, 62
	s_nop 1
	v_writelane_b32 v253, s9, 63
	s_and_b64 s[8:9], s[6:7], s[8:9]
	s_mov_b64 exec, s[8:9]
	s_cbranch_execz .LBB0_26
; %bb.25:
	.loc	1 41 16                         ; groupnorm_aot.py:41:16
	v_lshl_add_u64 v[4:5], v[218:219], 2, s[2:3]
	.loc	1 44 20                         ; groupnorm_aot.py:44:20
	global_load_dword v142, v[4:5], off
.LBB0_26:
	.loc	1 0 20 is_stmt 0                ; groupnorm_aot.py:0:20
	s_or_b64 exec, exec, s[6:7]
	.loc	1 32 37 is_stmt 1               ; groupnorm_aot.py:32:37
	s_add_i32 s6, s1, 13
	.loc	1 33 26                         ; groupnorm_aot.py:33:26
	s_cmp_lt_i32 s6, s15
	s_cselect_b64 s[8:9], -1, 0
                                        ; implicit-def: $vgpr254 : SGPR spill to VGPR lane
	.loc	1 35 66                         ; groupnorm_aot.py:35:66
	v_mad_u64_u32 v[220:221], s[6:7], s0, 13, v[2:3]
	v_writelane_b32 v254, s8, 0
	.loc	1 41 16                         ; groupnorm_aot.py:41:16
	v_ashrrev_i32_e32 v221, 31, v220
	s_nop 0
	v_writelane_b32 v254, s9, 1
	.loc	1 36 41                         ; groupnorm_aot.py:36:41
	s_and_b64 s[8:9], vcc, s[8:9]
	.loc	1 44 20                         ; groupnorm_aot.py:44:20
	s_mov_b64 s[6:7], exec
	v_writelane_b32 v254, s8, 2
	s_nop 1
	v_writelane_b32 v254, s9, 3
	s_and_b64 s[8:9], s[6:7], s[8:9]
	s_mov_b64 exec, s[8:9]
	s_cbranch_execz .LBB0_28
; %bb.27:
	.loc	1 41 16                         ; groupnorm_aot.py:41:16
	v_lshl_add_u64 v[4:5], v[220:221], 2, s[2:3]
	.loc	1 44 20                         ; groupnorm_aot.py:44:20
	global_load_dword v141, v[4:5], off
.LBB0_28:
	.loc	1 0 20 is_stmt 0                ; groupnorm_aot.py:0:20
	s_or_b64 exec, exec, s[6:7]
	.loc	1 32 37 is_stmt 1               ; groupnorm_aot.py:32:37
	s_add_i32 s6, s1, 14
	.loc	1 33 26                         ; groupnorm_aot.py:33:26
	s_cmp_lt_i32 s6, s15
	s_cselect_b64 s[8:9], -1, 0
	.loc	1 35 66                         ; groupnorm_aot.py:35:66
	v_mad_u64_u32 v[222:223], s[6:7], s0, 14, v[2:3]
	v_writelane_b32 v254, s8, 4
	.loc	1 44 20                         ; groupnorm_aot.py:44:20
	v_mov_b32_e32 v143, 0
	.loc	1 41 16                         ; groupnorm_aot.py:41:16
	v_ashrrev_i32_e32 v223, 31, v222
	v_writelane_b32 v254, s9, 5
	v_mov_b32_e32 v144, v143
	.loc	1 36 41                         ; groupnorm_aot.py:36:41
	s_and_b64 s[8:9], vcc, s[8:9]
	.loc	1 44 20                         ; groupnorm_aot.py:44:20
	s_mov_b64 s[6:7], exec
	v_writelane_b32 v254, s8, 6
	s_nop 1
	v_writelane_b32 v254, s9, 7
	s_and_b64 s[8:9], s[6:7], s[8:9]
	s_mov_b64 exec, s[8:9]
	s_cbranch_execz .LBB0_30
; %bb.29:
	.loc	1 41 16                         ; groupnorm_aot.py:41:16
	v_lshl_add_u64 v[4:5], v[222:223], 2, s[2:3]
	.loc	1 44 20                         ; groupnorm_aot.py:44:20
	global_load_dword v144, v[4:5], off
.LBB0_30:
	.loc	1 0 20 is_stmt 0                ; groupnorm_aot.py:0:20
	s_or_b64 exec, exec, s[6:7]
	.loc	1 32 37 is_stmt 1               ; groupnorm_aot.py:32:37
	s_add_i32 s6, s1, 15
	.loc	1 33 26                         ; groupnorm_aot.py:33:26
	s_cmp_lt_i32 s6, s15
	.loc	1 35 66                         ; groupnorm_aot.py:35:66
	v_mad_u64_u32 v[4:5], s[6:7], s0, 15, v[2:3]
	.loc	1 33 26                         ; groupnorm_aot.py:33:26
	s_cselect_b64 s[8:9], -1, 0
	.loc	1 41 16                         ; groupnorm_aot.py:41:16
	v_ashrrev_i32_e32 v5, 31, v4
	v_writelane_b32 v254, s8, 8
	v_accvgpr_write_b32 a31, v5
	v_accvgpr_write_b32 a30, v4
	v_writelane_b32 v254, s9, 9
	.loc	1 36 41                         ; groupnorm_aot.py:36:41
	s_and_b64 s[8:9], vcc, s[8:9]
	.loc	1 44 20                         ; groupnorm_aot.py:44:20
	s_mov_b64 s[6:7], exec
	v_writelane_b32 v254, s8, 10
	s_nop 1
	v_writelane_b32 v254, s9, 11
	s_and_b64 s[8:9], s[6:7], s[8:9]
	s_mov_b64 exec, s[8:9]
	s_cbranch_execz .LBB0_32
; %bb.31:
	.loc	1 0 20 is_stmt 0                ; groupnorm_aot.py:0:20
	v_accvgpr_read_b32 v4, a30
	v_accvgpr_read_b32 v5, a31
	.loc	1 41 16 is_stmt 1               ; groupnorm_aot.py:41:16
	v_lshl_add_u64 v[4:5], v[4:5], 2, s[2:3]
	.loc	1 44 20                         ; groupnorm_aot.py:44:20
	global_load_dword v143, v[4:5], off
.LBB0_32:
	.loc	1 0 20 is_stmt 0                ; groupnorm_aot.py:0:20
	s_or_b64 exec, exec, s[6:7]
	.loc	1 32 37 is_stmt 1               ; groupnorm_aot.py:32:37
	s_add_i32 s6, s1, 16
	.loc	1 33 26                         ; groupnorm_aot.py:33:26
	s_cmp_lt_i32 s6, s15
	.loc	1 35 66                         ; groupnorm_aot.py:35:66
	v_lshl_add_u32 v4, s0, 4, v2
	.loc	1 33 26                         ; groupnorm_aot.py:33:26
	s_cselect_b64 s[6:7], -1, 0
	.loc	1 41 16                         ; groupnorm_aot.py:41:16
	v_ashrrev_i32_e32 v5, 31, v4
	v_writelane_b32 v254, s6, 12
	v_accvgpr_write_b32 a33, v5
	.loc	1 44 20                         ; groupnorm_aot.py:44:20
	v_mov_b32_e32 v145, 0
	v_writelane_b32 v254, s7, 13
	v_accvgpr_write_b32 a32, v4
	v_mov_b32_e32 v146, v145
	.loc	1 36 41                         ; groupnorm_aot.py:36:41
	s_and_b64 s[8:9], vcc, s[6:7]
	.loc	1 44 20                         ; groupnorm_aot.py:44:20
	s_mov_b64 s[6:7], exec
	v_writelane_b32 v254, s8, 14
	s_nop 1
	v_writelane_b32 v254, s9, 15
	s_and_b64 s[8:9], s[6:7], s[8:9]
	s_mov_b64 exec, s[8:9]
	s_cbranch_execz .LBB0_34
; %bb.33:
	.loc	1 0 20 is_stmt 0                ; groupnorm_aot.py:0:20
	v_accvgpr_read_b32 v4, a32
	v_accvgpr_read_b32 v5, a33
	.loc	1 41 16 is_stmt 1               ; groupnorm_aot.py:41:16
	v_lshl_add_u64 v[4:5], v[4:5], 2, s[2:3]
	.loc	1 44 20                         ; groupnorm_aot.py:44:20
	global_load_dword v146, v[4:5], off
.LBB0_34:
	.loc	1 0 20 is_stmt 0                ; groupnorm_aot.py:0:20
	s_or_b64 exec, exec, s[6:7]
	.loc	1 32 37 is_stmt 1               ; groupnorm_aot.py:32:37
	s_add_i32 s6, s1, 17
	.loc	1 33 26                         ; groupnorm_aot.py:33:26
	s_cmp_lt_i32 s6, s15
	.loc	1 35 66                         ; groupnorm_aot.py:35:66
	v_mad_u64_u32 v[4:5], s[6:7], s0, 17, v[2:3]
	.loc	1 33 26                         ; groupnorm_aot.py:33:26
	s_cselect_b64 s[8:9], -1, 0
	.loc	1 41 16                         ; groupnorm_aot.py:41:16
	v_ashrrev_i32_e32 v5, 31, v4
	v_writelane_b32 v254, s8, 16
	v_accvgpr_write_b32 a35, v5
	v_accvgpr_write_b32 a34, v4
	v_writelane_b32 v254, s9, 17
	.loc	1 36 41                         ; groupnorm_aot.py:36:41
	s_and_b64 s[8:9], vcc, s[8:9]
	.loc	1 44 20                         ; groupnorm_aot.py:44:20
	s_mov_b64 s[6:7], exec
	v_writelane_b32 v254, s8, 18
	s_nop 1
	v_writelane_b32 v254, s9, 19
	s_and_b64 s[8:9], s[6:7], s[8:9]
	s_mov_b64 exec, s[8:9]
	s_cbranch_execz .LBB0_36
; %bb.35:
	.loc	1 0 20 is_stmt 0                ; groupnorm_aot.py:0:20
	v_accvgpr_read_b32 v4, a34
	v_accvgpr_read_b32 v5, a35
	.loc	1 41 16 is_stmt 1               ; groupnorm_aot.py:41:16
	v_lshl_add_u64 v[4:5], v[4:5], 2, s[2:3]
	.loc	1 44 20                         ; groupnorm_aot.py:44:20
	global_load_dword v145, v[4:5], off
.LBB0_36:
	.loc	1 0 20 is_stmt 0                ; groupnorm_aot.py:0:20
	s_or_b64 exec, exec, s[6:7]
	.loc	1 32 37 is_stmt 1               ; groupnorm_aot.py:32:37
	s_add_i32 s6, s1, 18
	.loc	1 33 26                         ; groupnorm_aot.py:33:26
	s_cmp_lt_i32 s6, s15
	s_cselect_b64 s[8:9], -1, 0
	.loc	1 35 66                         ; groupnorm_aot.py:35:66
	v_mad_u64_u32 v[38:39], s[6:7], s0, 18, v[2:3]
	v_writelane_b32 v254, s8, 20
	.loc	1 44 20                         ; groupnorm_aot.py:44:20
	v_mov_b32_e32 v147, 0
	.loc	1 41 16                         ; groupnorm_aot.py:41:16
	v_ashrrev_i32_e32 v39, 31, v38
	v_writelane_b32 v254, s9, 21
	v_mov_b32_e32 v148, v147
	.loc	1 36 41                         ; groupnorm_aot.py:36:41
	s_and_b64 s[8:9], vcc, s[8:9]
	.loc	1 44 20                         ; groupnorm_aot.py:44:20
	s_mov_b64 s[6:7], exec
	v_writelane_b32 v254, s8, 22
	s_nop 1
	v_writelane_b32 v254, s9, 23
	s_and_b64 s[8:9], s[6:7], s[8:9]
	s_mov_b64 exec, s[8:9]
	s_cbranch_execz .LBB0_38
; %bb.37:
	.loc	1 41 16                         ; groupnorm_aot.py:41:16
	v_lshl_add_u64 v[4:5], v[38:39], 2, s[2:3]
	.loc	1 44 20                         ; groupnorm_aot.py:44:20
	global_load_dword v148, v[4:5], off
.LBB0_38:
	.loc	1 0 20 is_stmt 0                ; groupnorm_aot.py:0:20
	s_or_b64 exec, exec, s[6:7]
	.loc	1 32 37 is_stmt 1               ; groupnorm_aot.py:32:37
	s_add_i32 s6, s1, 19
	.loc	1 33 26                         ; groupnorm_aot.py:33:26
	s_cmp_lt_i32 s6, s15
	s_cselect_b64 s[8:9], -1, 0
	.loc	1 35 66                         ; groupnorm_aot.py:35:66
	v_mad_u64_u32 v[40:41], s[6:7], s0, 19, v[2:3]
	v_writelane_b32 v254, s8, 24
	.loc	1 41 16                         ; groupnorm_aot.py:41:16
	v_ashrrev_i32_e32 v41, 31, v40
	s_nop 0
	v_writelane_b32 v254, s9, 25
	.loc	1 36 41                         ; groupnorm_aot.py:36:41
	s_and_b64 s[8:9], vcc, s[8:9]
	.loc	1 44 20                         ; groupnorm_aot.py:44:20
	s_mov_b64 s[6:7], exec
	v_writelane_b32 v254, s8, 26
	s_nop 1
	v_writelane_b32 v254, s9, 27
	s_and_b64 s[8:9], s[6:7], s[8:9]
	s_mov_b64 exec, s[8:9]
	s_cbranch_execz .LBB0_40
; %bb.39:
	.loc	1 41 16                         ; groupnorm_aot.py:41:16
	v_lshl_add_u64 v[4:5], v[40:41], 2, s[2:3]
	.loc	1 44 20                         ; groupnorm_aot.py:44:20
	global_load_dword v147, v[4:5], off
.LBB0_40:
	.loc	1 0 20 is_stmt 0                ; groupnorm_aot.py:0:20
	s_or_b64 exec, exec, s[6:7]
	.loc	1 32 37 is_stmt 1               ; groupnorm_aot.py:32:37
	s_add_i32 s6, s1, 20
	.loc	1 33 26                         ; groupnorm_aot.py:33:26
	s_cmp_lt_i32 s6, s15
	s_cselect_b64 s[8:9], -1, 0
	.loc	1 35 66                         ; groupnorm_aot.py:35:66
	v_mad_u64_u32 v[42:43], s[6:7], s0, 20, v[2:3]
	v_writelane_b32 v254, s8, 28
	.loc	1 44 20                         ; groupnorm_aot.py:44:20
	v_mov_b32_e32 v149, 0
	.loc	1 41 16                         ; groupnorm_aot.py:41:16
	v_ashrrev_i32_e32 v43, 31, v42
	v_writelane_b32 v254, s9, 29
	v_mov_b32_e32 v150, v149
	.loc	1 36 41                         ; groupnorm_aot.py:36:41
	s_and_b64 s[8:9], vcc, s[8:9]
	.loc	1 44 20                         ; groupnorm_aot.py:44:20
	s_mov_b64 s[6:7], exec
	v_writelane_b32 v254, s8, 30
	s_nop 1
	v_writelane_b32 v254, s9, 31
	s_and_b64 s[8:9], s[6:7], s[8:9]
	s_mov_b64 exec, s[8:9]
	s_cbranch_execz .LBB0_42
; %bb.41:
	.loc	1 41 16                         ; groupnorm_aot.py:41:16
	v_lshl_add_u64 v[4:5], v[42:43], 2, s[2:3]
	.loc	1 44 20                         ; groupnorm_aot.py:44:20
	global_load_dword v150, v[4:5], off
.LBB0_42:
	.loc	1 0 20 is_stmt 0                ; groupnorm_aot.py:0:20
	s_or_b64 exec, exec, s[6:7]
	.loc	1 32 37 is_stmt 1               ; groupnorm_aot.py:32:37
	s_add_i32 s6, s1, 21
	.loc	1 33 26                         ; groupnorm_aot.py:33:26
	s_cmp_lt_i32 s6, s15
	.loc	1 35 66                         ; groupnorm_aot.py:35:66
	v_mad_u64_u32 v[44:45], s[6:7], s0, 21, v[2:3]
	.loc	1 33 26                         ; groupnorm_aot.py:33:26
	s_cselect_b64 s[90:91], -1, 0
	.loc	1 41 16                         ; groupnorm_aot.py:41:16
	v_ashrrev_i32_e32 v45, 31, v44
	.loc	1 36 41                         ; groupnorm_aot.py:36:41
	s_and_b64 s[8:9], vcc, s[90:91]
	.loc	1 44 20                         ; groupnorm_aot.py:44:20
	s_mov_b64 s[6:7], exec
	v_writelane_b32 v254, s8, 32
	s_nop 1
	v_writelane_b32 v254, s9, 33
	s_and_b64 s[8:9], s[6:7], s[8:9]
	s_mov_b64 exec, s[8:9]
	s_cbranch_execz .LBB0_44
; %bb.43:
	.loc	1 41 16                         ; groupnorm_aot.py:41:16
	v_lshl_add_u64 v[4:5], v[44:45], 2, s[2:3]
	.loc	1 44 20                         ; groupnorm_aot.py:44:20
	global_load_dword v149, v[4:5], off
.LBB0_44:
	.loc	1 0 20 is_stmt 0                ; groupnorm_aot.py:0:20
	s_or_b64 exec, exec, s[6:7]
	.loc	1 32 37 is_stmt 1               ; groupnorm_aot.py:32:37
	s_add_i32 s6, s1, 22
	.loc	1 33 26                         ; groupnorm_aot.py:33:26
	s_cmp_lt_i32 s6, s15
	.loc	1 35 66                         ; groupnorm_aot.py:35:66
	v_mad_u64_u32 v[46:47], s[6:7], s0, 22, v[2:3]
	.loc	1 44 20                         ; groupnorm_aot.py:44:20
	v_mov_b32_e32 v151, 0
	.loc	1 33 26                         ; groupnorm_aot.py:33:26
	s_cselect_b64 s[92:93], -1, 0
	.loc	1 41 16                         ; groupnorm_aot.py:41:16
	v_ashrrev_i32_e32 v47, 31, v46
	v_mov_b32_e32 v152, v151
	.loc	1 36 41                         ; groupnorm_aot.py:36:41
	s_and_b64 s[8:9], vcc, s[92:93]
	.loc	1 44 20                         ; groupnorm_aot.py:44:20
	s_mov_b64 s[6:7], exec
	v_writelane_b32 v254, s8, 34
	s_nop 1
	v_writelane_b32 v254, s9, 35
	s_and_b64 s[8:9], s[6:7], s[8:9]
	s_mov_b64 exec, s[8:9]
	s_cbranch_execz .LBB0_46
; %bb.45:
	.loc	1 41 16                         ; groupnorm_aot.py:41:16
	v_lshl_add_u64 v[4:5], v[46:47], 2, s[2:3]
	.loc	1 44 20                         ; groupnorm_aot.py:44:20
	global_load_dword v152, v[4:5], off
.LBB0_46:
	.loc	1 0 20 is_stmt 0                ; groupnorm_aot.py:0:20
	s_or_b64 exec, exec, s[6:7]
	.loc	1 32 37 is_stmt 1               ; groupnorm_aot.py:32:37
	s_add_i32 s6, s1, 23
	.loc	1 33 26                         ; groupnorm_aot.py:33:26
	s_cmp_lt_i32 s6, s15
	.loc	1 35 66                         ; groupnorm_aot.py:35:66
	v_mad_u64_u32 v[48:49], s[6:7], s0, 23, v[2:3]
	.loc	1 33 26                         ; groupnorm_aot.py:33:26
	s_cselect_b64 s[94:95], -1, 0
	.loc	1 41 16                         ; groupnorm_aot.py:41:16
	v_ashrrev_i32_e32 v49, 31, v48
	.loc	1 36 41                         ; groupnorm_aot.py:36:41
	s_and_b64 s[8:9], vcc, s[94:95]
	.loc	1 44 20                         ; groupnorm_aot.py:44:20
	s_mov_b64 s[6:7], exec
	v_writelane_b32 v254, s8, 36
	s_nop 1
	v_writelane_b32 v254, s9, 37
	s_and_b64 s[8:9], s[6:7], s[8:9]
	s_mov_b64 exec, s[8:9]
	s_cbranch_execz .LBB0_48
; %bb.47:
	.loc	1 41 16                         ; groupnorm_aot.py:41:16
	v_lshl_add_u64 v[4:5], v[48:49], 2, s[2:3]
	.loc	1 44 20                         ; groupnorm_aot.py:44:20
	global_load_dword v151, v[4:5], off
.LBB0_48:
	.loc	1 0 20 is_stmt 0                ; groupnorm_aot.py:0:20
	s_or_b64 exec, exec, s[6:7]
	.loc	1 32 37 is_stmt 1               ; groupnorm_aot.py:32:37
	s_add_i32 s6, s1, 24
	.loc	1 33 26                         ; groupnorm_aot.py:33:26
	s_cmp_lt_i32 s6, s15
	.loc	1 35 66                         ; groupnorm_aot.py:35:66
	v_mad_u64_u32 v[50:51], s[6:7], s0, 24, v[2:3]
	.loc	1 44 20                         ; groupnorm_aot.py:44:20
	v_mov_b32_e32 v153, 0
	.loc	1 33 26                         ; groupnorm_aot.py:33:26
	s_cselect_b64 s[96:97], -1, 0
	.loc	1 41 16                         ; groupnorm_aot.py:41:16
	v_ashrrev_i32_e32 v51, 31, v50
	v_mov_b32_e32 v154, v153
	.loc	1 36 41                         ; groupnorm_aot.py:36:41
	s_and_b64 s[8:9], vcc, s[96:97]
	.loc	1 44 20                         ; groupnorm_aot.py:44:20
	s_mov_b64 s[6:7], exec
	v_writelane_b32 v254, s8, 38
	s_nop 1
	v_writelane_b32 v254, s9, 39
	s_and_b64 s[8:9], s[6:7], s[8:9]
	s_mov_b64 exec, s[8:9]
	s_cbranch_execz .LBB0_50
; %bb.49:
	.loc	1 41 16                         ; groupnorm_aot.py:41:16
	v_lshl_add_u64 v[4:5], v[50:51], 2, s[2:3]
	.loc	1 44 20                         ; groupnorm_aot.py:44:20
	global_load_dword v154, v[4:5], off
.LBB0_50:
	.loc	1 0 20 is_stmt 0                ; groupnorm_aot.py:0:20
	s_or_b64 exec, exec, s[6:7]
	.loc	1 32 37 is_stmt 1               ; groupnorm_aot.py:32:37
	s_add_i32 s6, s1, 25
	.loc	1 33 26                         ; groupnorm_aot.py:33:26
	s_cmp_lt_i32 s6, s15
	.loc	1 35 66                         ; groupnorm_aot.py:35:66
	v_mad_u64_u32 v[52:53], s[6:7], s0, 25, v[2:3]
	.loc	1 33 26                         ; groupnorm_aot.py:33:26
	s_cselect_b64 s[98:99], -1, 0
	.loc	1 41 16                         ; groupnorm_aot.py:41:16
	v_ashrrev_i32_e32 v53, 31, v52
	.loc	1 36 41                         ; groupnorm_aot.py:36:41
	s_and_b64 s[8:9], vcc, s[98:99]
	.loc	1 44 20                         ; groupnorm_aot.py:44:20
	s_mov_b64 s[6:7], exec
	v_writelane_b32 v254, s8, 40
	s_nop 1
	v_writelane_b32 v254, s9, 41
	s_and_b64 s[8:9], s[6:7], s[8:9]
	s_mov_b64 exec, s[8:9]
	s_cbranch_execz .LBB0_52
; %bb.51:
	.loc	1 41 16                         ; groupnorm_aot.py:41:16
	v_lshl_add_u64 v[4:5], v[52:53], 2, s[2:3]
	.loc	1 44 20                         ; groupnorm_aot.py:44:20
	global_load_dword v153, v[4:5], off
.LBB0_52:
	.loc	1 0 20 is_stmt 0                ; groupnorm_aot.py:0:20
	s_or_b64 exec, exec, s[6:7]
	.loc	1 32 37 is_stmt 1               ; groupnorm_aot.py:32:37
	s_add_i32 s6, s1, 26
	.loc	1 33 26                         ; groupnorm_aot.py:33:26
	s_cmp_lt_i32 s6, s15
	.loc	1 35 66                         ; groupnorm_aot.py:35:66
	v_mad_u64_u32 v[54:55], s[6:7], s0, 26, v[2:3]
	.loc	1 44 20                         ; groupnorm_aot.py:44:20
	v_mov_b32_e32 v155, 0
	.loc	1 33 26                         ; groupnorm_aot.py:33:26
	s_cselect_b64 s[48:49], -1, 0
	.loc	1 41 16                         ; groupnorm_aot.py:41:16
	v_ashrrev_i32_e32 v55, 31, v54
	v_mov_b32_e32 v156, v155
	.loc	1 36 41                         ; groupnorm_aot.py:36:41
	s_and_b64 s[8:9], vcc, s[48:49]
	.loc	1 44 20                         ; groupnorm_aot.py:44:20
	s_mov_b64 s[6:7], exec
	v_writelane_b32 v254, s8, 42
	s_nop 1
	v_writelane_b32 v254, s9, 43
	s_and_b64 s[8:9], s[6:7], s[8:9]
	s_mov_b64 exec, s[8:9]
	s_cbranch_execz .LBB0_54
; %bb.53:
	.loc	1 41 16                         ; groupnorm_aot.py:41:16
	v_lshl_add_u64 v[4:5], v[54:55], 2, s[2:3]
	.loc	1 44 20                         ; groupnorm_aot.py:44:20
	global_load_dword v156, v[4:5], off
.LBB0_54:
	.loc	1 0 20 is_stmt 0                ; groupnorm_aot.py:0:20
	s_or_b64 exec, exec, s[6:7]
	.loc	1 32 37 is_stmt 1               ; groupnorm_aot.py:32:37
	s_add_i32 s6, s1, 27
	.loc	1 33 26                         ; groupnorm_aot.py:33:26
	s_cmp_lt_i32 s6, s15
	.loc	1 35 66                         ; groupnorm_aot.py:35:66
	v_mad_u64_u32 v[56:57], s[6:7], s0, 27, v[2:3]
	.loc	1 33 26                         ; groupnorm_aot.py:33:26
	s_cselect_b64 s[12:13], -1, 0
	.loc	1 41 16                         ; groupnorm_aot.py:41:16
	v_ashrrev_i32_e32 v57, 31, v56
	.loc	1 36 41                         ; groupnorm_aot.py:36:41
	s_and_b64 s[8:9], vcc, s[12:13]
	.loc	1 44 20                         ; groupnorm_aot.py:44:20
	s_mov_b64 s[6:7], exec
	v_writelane_b32 v254, s8, 44
	s_nop 1
	v_writelane_b32 v254, s9, 45
	s_and_b64 s[8:9], s[6:7], s[8:9]
	s_mov_b64 exec, s[8:9]
	s_cbranch_execz .LBB0_56
; %bb.55:
	.loc	1 41 16                         ; groupnorm_aot.py:41:16
	v_lshl_add_u64 v[4:5], v[56:57], 2, s[2:3]
	.loc	1 44 20                         ; groupnorm_aot.py:44:20
	global_load_dword v155, v[4:5], off
.LBB0_56:
	.loc	1 0 20 is_stmt 0                ; groupnorm_aot.py:0:20
	s_or_b64 exec, exec, s[6:7]
	.loc	1 32 37 is_stmt 1               ; groupnorm_aot.py:32:37
	s_add_i32 s6, s1, 28
	.loc	1 33 26                         ; groupnorm_aot.py:33:26
	s_cmp_lt_i32 s6, s15
	.loc	1 35 66                         ; groupnorm_aot.py:35:66
	v_mad_u64_u32 v[58:59], s[6:7], s0, 28, v[2:3]
	.loc	1 44 20                         ; groupnorm_aot.py:44:20
	v_mov_b32_e32 v157, 0
	.loc	1 33 26                         ; groupnorm_aot.py:33:26
	s_cselect_b64 s[10:11], -1, 0
	.loc	1 41 16                         ; groupnorm_aot.py:41:16
	v_ashrrev_i32_e32 v59, 31, v58
	v_mov_b32_e32 v158, v157
	.loc	1 36 41                         ; groupnorm_aot.py:36:41
	s_and_b64 s[8:9], vcc, s[10:11]
	.loc	1 44 20                         ; groupnorm_aot.py:44:20
	s_mov_b64 s[6:7], exec
	v_writelane_b32 v254, s8, 46
	s_nop 1
	v_writelane_b32 v254, s9, 47
	s_and_b64 s[8:9], s[6:7], s[8:9]
	s_mov_b64 exec, s[8:9]
	s_cbranch_execz .LBB0_58
; %bb.57:
	.loc	1 41 16                         ; groupnorm_aot.py:41:16
	v_lshl_add_u64 v[4:5], v[58:59], 2, s[2:3]
	.loc	1 44 20                         ; groupnorm_aot.py:44:20
	global_load_dword v158, v[4:5], off
.LBB0_58:
	.loc	1 0 20 is_stmt 0                ; groupnorm_aot.py:0:20
	s_or_b64 exec, exec, s[6:7]
	.loc	1 32 37 is_stmt 1               ; groupnorm_aot.py:32:37
	s_add_i32 s6, s1, 29
	.loc	1 33 26                         ; groupnorm_aot.py:33:26
	s_cmp_lt_i32 s6, s15
	.loc	1 35 66                         ; groupnorm_aot.py:35:66
	v_mad_u64_u32 v[60:61], s[6:7], s0, 29, v[2:3]
	.loc	1 33 26                         ; groupnorm_aot.py:33:26
	s_cselect_b64 s[46:47], -1, 0
	.loc	1 41 16                         ; groupnorm_aot.py:41:16
	v_ashrrev_i32_e32 v61, 31, v60
	.loc	1 36 41                         ; groupnorm_aot.py:36:41
	s_and_b64 s[8:9], vcc, s[46:47]
	.loc	1 44 20                         ; groupnorm_aot.py:44:20
	s_mov_b64 s[6:7], exec
	v_writelane_b32 v254, s8, 48
	s_nop 1
	v_writelane_b32 v254, s9, 49
	s_and_b64 s[8:9], s[6:7], s[8:9]
	s_mov_b64 exec, s[8:9]
	s_cbranch_execz .LBB0_60
; %bb.59:
	.loc	1 41 16                         ; groupnorm_aot.py:41:16
	v_lshl_add_u64 v[4:5], v[60:61], 2, s[2:3]
	.loc	1 44 20                         ; groupnorm_aot.py:44:20
	global_load_dword v157, v[4:5], off
.LBB0_60:
	.loc	1 0 20 is_stmt 0                ; groupnorm_aot.py:0:20
	s_or_b64 exec, exec, s[6:7]
	.loc	1 32 37 is_stmt 1               ; groupnorm_aot.py:32:37
	s_add_i32 s6, s1, 30
	.loc	1 33 26                         ; groupnorm_aot.py:33:26
	s_cmp_lt_i32 s6, s15
	.loc	1 35 66                         ; groupnorm_aot.py:35:66
	v_mad_u64_u32 v[62:63], s[6:7], s0, 30, v[2:3]
	.loc	1 44 20                         ; groupnorm_aot.py:44:20
	v_mov_b32_e32 v159, 0
	.loc	1 33 26                         ; groupnorm_aot.py:33:26
	s_cselect_b64 s[8:9], -1, 0
	.loc	1 41 16                         ; groupnorm_aot.py:41:16
	v_ashrrev_i32_e32 v63, 31, v62
	v_mov_b32_e32 v160, v159
	.loc	1 36 41                         ; groupnorm_aot.py:36:41
	s_and_b64 s[16:17], vcc, s[8:9]
	.loc	1 44 20                         ; groupnorm_aot.py:44:20
	s_mov_b64 s[6:7], exec
	v_writelane_b32 v254, s16, 50
	s_nop 1
	v_writelane_b32 v254, s17, 51
	s_and_b64 s[16:17], s[6:7], s[16:17]
	s_mov_b64 exec, s[16:17]
	s_cbranch_execz .LBB0_62
; %bb.61:
	.loc	1 41 16                         ; groupnorm_aot.py:41:16
	v_lshl_add_u64 v[4:5], v[62:63], 2, s[2:3]
	.loc	1 44 20                         ; groupnorm_aot.py:44:20
	global_load_dword v160, v[4:5], off
.LBB0_62:
	.loc	1 0 20 is_stmt 0                ; groupnorm_aot.py:0:20
	s_or_b64 exec, exec, s[6:7]
	.loc	1 32 37 is_stmt 1               ; groupnorm_aot.py:32:37
	s_add_i32 s6, s1, 31
	.loc	1 33 26                         ; groupnorm_aot.py:33:26
	s_cmp_lt_i32 s6, s15
	.loc	1 35 66                         ; groupnorm_aot.py:35:66
	v_mad_u64_u32 v[64:65], s[6:7], s0, 31, v[2:3]
	.loc	1 33 26                         ; groupnorm_aot.py:33:26
	s_cselect_b64 s[44:45], -1, 0
	.loc	1 41 16                         ; groupnorm_aot.py:41:16
	v_ashrrev_i32_e32 v65, 31, v64
	.loc	1 36 41                         ; groupnorm_aot.py:36:41
	s_and_b64 s[16:17], vcc, s[44:45]
	.loc	1 44 20                         ; groupnorm_aot.py:44:20
	s_mov_b64 s[6:7], exec
	v_writelane_b32 v254, s16, 52
	s_nop 1
	v_writelane_b32 v254, s17, 53
	s_and_b64 s[16:17], s[6:7], s[16:17]
	s_mov_b64 exec, s[16:17]
	s_cbranch_execz .LBB0_64
; %bb.63:
	.loc	1 41 16                         ; groupnorm_aot.py:41:16
	v_lshl_add_u64 v[4:5], v[64:65], 2, s[2:3]
	.loc	1 44 20                         ; groupnorm_aot.py:44:20
	global_load_dword v159, v[4:5], off
.LBB0_64:
	.loc	1 0 20 is_stmt 0                ; groupnorm_aot.py:0:20
	s_or_b64 exec, exec, s[6:7]
	.loc	1 32 37 is_stmt 1               ; groupnorm_aot.py:32:37
	s_add_i32 s6, s1, 32
	.loc	1 33 26                         ; groupnorm_aot.py:33:26
	s_cmp_lt_i32 s6, s15
	.loc	1 35 66                         ; groupnorm_aot.py:35:66
	v_lshl_add_u32 v66, s0, 5, v2
	.loc	1 44 20                         ; groupnorm_aot.py:44:20
	v_mov_b32_e32 v161, 0
	.loc	1 33 26                         ; groupnorm_aot.py:33:26
	s_cselect_b64 s[18:19], -1, 0
	.loc	1 41 16                         ; groupnorm_aot.py:41:16
	v_ashrrev_i32_e32 v67, 31, v66
	v_mov_b32_e32 v162, v161
	.loc	1 36 41                         ; groupnorm_aot.py:36:41
	s_and_b64 s[16:17], vcc, s[18:19]
	.loc	1 44 20                         ; groupnorm_aot.py:44:20
	s_mov_b64 s[6:7], exec
	v_writelane_b32 v254, s16, 54
	s_nop 1
	v_writelane_b32 v254, s17, 55
	s_and_b64 s[16:17], s[6:7], s[16:17]
	s_mov_b64 exec, s[16:17]
	s_cbranch_execz .LBB0_66
; %bb.65:
	.loc	1 41 16                         ; groupnorm_aot.py:41:16
	v_lshl_add_u64 v[4:5], v[66:67], 2, s[2:3]
	.loc	1 44 20                         ; groupnorm_aot.py:44:20
	global_load_dword v162, v[4:5], off
.LBB0_66:
	.loc	1 0 20 is_stmt 0                ; groupnorm_aot.py:0:20
	s_or_b64 exec, exec, s[6:7]
	.loc	1 32 37 is_stmt 1               ; groupnorm_aot.py:32:37
	s_add_i32 s6, s1, 33
	.loc	1 33 26                         ; groupnorm_aot.py:33:26
	s_cmp_lt_i32 s6, s15
	.loc	1 35 66                         ; groupnorm_aot.py:35:66
	v_mad_u64_u32 v[68:69], s[6:7], s0, 33, v[2:3]
	.loc	1 33 26                         ; groupnorm_aot.py:33:26
	s_cselect_b64 s[16:17], -1, 0
	.loc	1 41 16                         ; groupnorm_aot.py:41:16
	v_ashrrev_i32_e32 v69, 31, v68
	.loc	1 36 41                         ; groupnorm_aot.py:36:41
	s_and_b64 s[20:21], vcc, s[16:17]
	.loc	1 44 20                         ; groupnorm_aot.py:44:20
	s_mov_b64 s[6:7], exec
	v_writelane_b32 v254, s20, 56
	s_nop 1
	v_writelane_b32 v254, s21, 57
	s_and_b64 s[20:21], s[6:7], s[20:21]
	s_mov_b64 exec, s[20:21]
	s_cbranch_execz .LBB0_68
; %bb.67:
	.loc	1 41 16                         ; groupnorm_aot.py:41:16
	v_lshl_add_u64 v[4:5], v[68:69], 2, s[2:3]
	.loc	1 44 20                         ; groupnorm_aot.py:44:20
	global_load_dword v161, v[4:5], off
.LBB0_68:
	.loc	1 0 20 is_stmt 0                ; groupnorm_aot.py:0:20
	s_or_b64 exec, exec, s[6:7]
	.loc	1 32 37 is_stmt 1               ; groupnorm_aot.py:32:37
	s_add_i32 s6, s1, 34
	.loc	1 33 26                         ; groupnorm_aot.py:33:26
	s_cmp_lt_i32 s6, s15
	.loc	1 35 66                         ; groupnorm_aot.py:35:66
	v_mad_u64_u32 v[70:71], s[6:7], s0, 34, v[2:3]
	.loc	1 44 20                         ; groupnorm_aot.py:44:20
	v_mov_b32_e32 v163, 0
	.loc	1 33 26                         ; groupnorm_aot.py:33:26
	s_cselect_b64 s[20:21], -1, 0
	.loc	1 41 16                         ; groupnorm_aot.py:41:16
	v_ashrrev_i32_e32 v71, 31, v70
	v_mov_b32_e32 v164, v163
	.loc	1 36 41                         ; groupnorm_aot.py:36:41
	s_and_b64 s[22:23], vcc, s[20:21]
	.loc	1 44 20                         ; groupnorm_aot.py:44:20
	s_mov_b64 s[6:7], exec
	v_writelane_b32 v254, s22, 58
	s_nop 1
	v_writelane_b32 v254, s23, 59
	s_and_b64 s[22:23], s[6:7], s[22:23]
	s_mov_b64 exec, s[22:23]
	s_cbranch_execz .LBB0_70
; %bb.69:
	.loc	1 41 16                         ; groupnorm_aot.py:41:16
	v_lshl_add_u64 v[4:5], v[70:71], 2, s[2:3]
	.loc	1 44 20                         ; groupnorm_aot.py:44:20
	global_load_dword v164, v[4:5], off
.LBB0_70:
	.loc	1 0 20 is_stmt 0                ; groupnorm_aot.py:0:20
	s_or_b64 exec, exec, s[6:7]
	.loc	1 32 37 is_stmt 1               ; groupnorm_aot.py:32:37
	s_add_i32 s6, s1, 35
	.loc	1 33 26                         ; groupnorm_aot.py:33:26
	s_cmp_lt_i32 s6, s15
	.loc	1 35 66                         ; groupnorm_aot.py:35:66
	v_mad_u64_u32 v[72:73], s[6:7], s0, 35, v[2:3]
	.loc	1 33 26                         ; groupnorm_aot.py:33:26
	s_cselect_b64 s[22:23], -1, 0
	.loc	1 41 16                         ; groupnorm_aot.py:41:16
	v_ashrrev_i32_e32 v73, 31, v72
	.loc	1 36 41                         ; groupnorm_aot.py:36:41
	s_and_b64 s[24:25], vcc, s[22:23]
	.loc	1 44 20                         ; groupnorm_aot.py:44:20
	s_mov_b64 s[6:7], exec
	v_writelane_b32 v254, s24, 60
	s_nop 1
	v_writelane_b32 v254, s25, 61
	s_and_b64 s[24:25], s[6:7], s[24:25]
	s_mov_b64 exec, s[24:25]
	s_cbranch_execz .LBB0_72
; %bb.71:
	.loc	1 41 16                         ; groupnorm_aot.py:41:16
	v_lshl_add_u64 v[4:5], v[72:73], 2, s[2:3]
	.loc	1 44 20                         ; groupnorm_aot.py:44:20
	global_load_dword v163, v[4:5], off
.LBB0_72:
	.loc	1 0 20 is_stmt 0                ; groupnorm_aot.py:0:20
	s_or_b64 exec, exec, s[6:7]
	.loc	1 32 37 is_stmt 1               ; groupnorm_aot.py:32:37
	s_add_i32 s6, s1, 36
	.loc	1 33 26                         ; groupnorm_aot.py:33:26
	s_cmp_lt_i32 s6, s15
	.loc	1 35 66                         ; groupnorm_aot.py:35:66
	v_mad_u64_u32 v[74:75], s[6:7], s0, 36, v[2:3]
	.loc	1 44 20                         ; groupnorm_aot.py:44:20
	v_mov_b32_e32 v165, 0
	.loc	1 33 26                         ; groupnorm_aot.py:33:26
	s_cselect_b64 s[24:25], -1, 0
	.loc	1 41 16                         ; groupnorm_aot.py:41:16
	v_ashrrev_i32_e32 v75, 31, v74
	v_mov_b32_e32 v4, v165
	.loc	1 36 41                         ; groupnorm_aot.py:36:41
	s_and_b64 s[26:27], vcc, s[24:25]
	.loc	1 44 20                         ; groupnorm_aot.py:44:20
	s_mov_b64 s[6:7], exec
	v_writelane_b32 v254, s26, 62
	s_nop 1
	v_writelane_b32 v254, s27, 63
	s_and_b64 s[26:27], s[6:7], s[26:27]
	s_mov_b64 exec, s[26:27]
	s_cbranch_execz .LBB0_74
; %bb.73:
	.loc	1 41 16                         ; groupnorm_aot.py:41:16
	v_lshl_add_u64 v[4:5], v[74:75], 2, s[2:3]
	.loc	1 44 20                         ; groupnorm_aot.py:44:20
	global_load_dword v4, v[4:5], off
.LBB0_74:
	.loc	1 0 20 is_stmt 0                ; groupnorm_aot.py:0:20
	s_or_b64 exec, exec, s[6:7]
	.loc	1 32 37 is_stmt 1               ; groupnorm_aot.py:32:37
	s_add_i32 s6, s1, 37
	.loc	1 33 26                         ; groupnorm_aot.py:33:26
	s_cmp_lt_i32 s6, s15
	.loc	1 35 66                         ; groupnorm_aot.py:35:66
	v_mad_u64_u32 v[76:77], s[6:7], s0, 37, v[2:3]
	.loc	1 33 26                         ; groupnorm_aot.py:33:26
	s_cselect_b64 s[26:27], -1, 0
	.loc	1 41 16                         ; groupnorm_aot.py:41:16
	v_ashrrev_i32_e32 v77, 31, v76
	.loc	1 36 41                         ; groupnorm_aot.py:36:41
	s_and_b64 s[28:29], vcc, s[26:27]
	.loc	1 44 20                         ; groupnorm_aot.py:44:20
	s_mov_b64 s[6:7], exec
                                        ; implicit-def: $vgpr255 : SGPR spill to VGPR lane
	v_writelane_b32 v255, s28, 0
	s_nop 1
	v_writelane_b32 v255, s29, 1
	s_and_b64 s[28:29], s[6:7], s[28:29]
	s_mov_b64 exec, s[28:29]
	s_cbranch_execz .LBB0_76
; %bb.75:
	.loc	1 41 16                         ; groupnorm_aot.py:41:16
	v_lshl_add_u64 v[6:7], v[76:77], 2, s[2:3]
	.loc	1 44 20                         ; groupnorm_aot.py:44:20
	global_load_dword v165, v[6:7], off
.LBB0_76:
	.loc	1 0 20 is_stmt 0                ; groupnorm_aot.py:0:20
	s_or_b64 exec, exec, s[6:7]
	.loc	1 32 37 is_stmt 1               ; groupnorm_aot.py:32:37
	s_add_i32 s6, s1, 38
	.loc	1 33 26                         ; groupnorm_aot.py:33:26
	s_cmp_lt_i32 s6, s15
	.loc	1 35 66                         ; groupnorm_aot.py:35:66
	v_mad_u64_u32 v[78:79], s[6:7], s0, 38, v[2:3]
	.loc	1 44 20                         ; groupnorm_aot.py:44:20
	v_mov_b32_e32 v5, 0
	.loc	1 33 26                         ; groupnorm_aot.py:33:26
	s_cselect_b64 s[28:29], -1, 0
	.loc	1 41 16                         ; groupnorm_aot.py:41:16
	v_ashrrev_i32_e32 v79, 31, v78
	v_mov_b32_e32 v6, v5
	.loc	1 36 41                         ; groupnorm_aot.py:36:41
	s_and_b64 s[30:31], vcc, s[28:29]
	.loc	1 44 20                         ; groupnorm_aot.py:44:20
	s_mov_b64 s[6:7], exec
	v_writelane_b32 v255, s30, 2
	s_nop 1
	v_writelane_b32 v255, s31, 3
	s_and_b64 s[30:31], s[6:7], s[30:31]
	s_mov_b64 exec, s[30:31]
	s_cbranch_execz .LBB0_78
; %bb.77:
	.loc	1 41 16                         ; groupnorm_aot.py:41:16
	v_lshl_add_u64 v[6:7], v[78:79], 2, s[2:3]
	.loc	1 44 20                         ; groupnorm_aot.py:44:20
	global_load_dword v6, v[6:7], off
.LBB0_78:
	.loc	1 0 20 is_stmt 0                ; groupnorm_aot.py:0:20
	s_or_b64 exec, exec, s[6:7]
	.loc	1 32 37 is_stmt 1               ; groupnorm_aot.py:32:37
	s_add_i32 s6, s1, 39
	.loc	1 33 26                         ; groupnorm_aot.py:33:26
	s_cmp_lt_i32 s6, s15
	.loc	1 35 66                         ; groupnorm_aot.py:35:66
	v_mad_u64_u32 v[80:81], s[6:7], s0, 39, v[2:3]
	.loc	1 33 26                         ; groupnorm_aot.py:33:26
	s_cselect_b64 s[30:31], -1, 0
	.loc	1 41 16                         ; groupnorm_aot.py:41:16
	v_ashrrev_i32_e32 v81, 31, v80
	.loc	1 36 41                         ; groupnorm_aot.py:36:41
	s_and_b64 s[34:35], vcc, s[30:31]
	.loc	1 44 20                         ; groupnorm_aot.py:44:20
	s_mov_b64 s[6:7], exec
	v_writelane_b32 v255, s34, 4
	s_nop 1
	v_writelane_b32 v255, s35, 5
	s_and_b64 s[34:35], s[6:7], s[34:35]
	s_mov_b64 exec, s[34:35]
	s_cbranch_execz .LBB0_80
; %bb.79:
	.loc	1 41 16                         ; groupnorm_aot.py:41:16
	v_lshl_add_u64 v[8:9], v[80:81], 2, s[2:3]
	.loc	1 44 20                         ; groupnorm_aot.py:44:20
	global_load_dword v5, v[8:9], off
.LBB0_80:
	.loc	1 0 20 is_stmt 0                ; groupnorm_aot.py:0:20
	s_or_b64 exec, exec, s[6:7]
	.loc	1 32 37 is_stmt 1               ; groupnorm_aot.py:32:37
	s_add_i32 s6, s1, 40
	.loc	1 33 26                         ; groupnorm_aot.py:33:26
	s_cmp_lt_i32 s6, s15
	.loc	1 35 66                         ; groupnorm_aot.py:35:66
	v_mad_u64_u32 v[82:83], s[6:7], s0, 40, v[2:3]
	.loc	1 44 20                         ; groupnorm_aot.py:44:20
	v_mov_b32_e32 v7, 0
	.loc	1 33 26                         ; groupnorm_aot.py:33:26
	s_cselect_b64 s[34:35], -1, 0
	.loc	1 41 16                         ; groupnorm_aot.py:41:16
	v_ashrrev_i32_e32 v83, 31, v82
	v_mov_b32_e32 v8, v7
	.loc	1 36 41                         ; groupnorm_aot.py:36:41
	s_and_b64 s[36:37], vcc, s[34:35]
	.loc	1 44 20                         ; groupnorm_aot.py:44:20
	s_mov_b64 s[6:7], exec
	v_writelane_b32 v255, s36, 6
	s_nop 1
	v_writelane_b32 v255, s37, 7
	s_and_b64 s[36:37], s[6:7], s[36:37]
	s_mov_b64 exec, s[36:37]
	s_cbranch_execz .LBB0_82
; %bb.81:
	.loc	1 41 16                         ; groupnorm_aot.py:41:16
	v_lshl_add_u64 v[8:9], v[82:83], 2, s[2:3]
	.loc	1 44 20                         ; groupnorm_aot.py:44:20
	global_load_dword v8, v[8:9], off
.LBB0_82:
	.loc	1 0 20 is_stmt 0                ; groupnorm_aot.py:0:20
	s_or_b64 exec, exec, s[6:7]
	.loc	1 32 37 is_stmt 1               ; groupnorm_aot.py:32:37
	s_add_i32 s6, s1, 41
	.loc	1 33 26                         ; groupnorm_aot.py:33:26
	s_cmp_lt_i32 s6, s15
	.loc	1 35 66                         ; groupnorm_aot.py:35:66
	v_mad_u64_u32 v[84:85], s[6:7], s0, 41, v[2:3]
	.loc	1 33 26                         ; groupnorm_aot.py:33:26
	s_cselect_b64 s[36:37], -1, 0
	.loc	1 41 16                         ; groupnorm_aot.py:41:16
	v_ashrrev_i32_e32 v85, 31, v84
	.loc	1 36 41                         ; groupnorm_aot.py:36:41
	s_and_b64 s[38:39], vcc, s[36:37]
	.loc	1 44 20                         ; groupnorm_aot.py:44:20
	s_mov_b64 s[6:7], exec
	;; [unrolled: 59-line block ×13, first 2 shown]
	v_writelane_b32 v255, s86, 52
	s_nop 1
	v_writelane_b32 v255, s87, 53
	s_and_b64 s[86:87], s[0:1], s[86:87]
	s_mov_b64 exec, s[86:87]
	s_cbranch_execz .LBB0_128
; %bb.127:
	.loc	1 41 16                         ; groupnorm_aot.py:41:16
	v_lshl_add_u64 v[32:33], v[128:129], 2, s[2:3]
	.loc	1 44 20                         ; groupnorm_aot.py:44:20
	global_load_dword v30, v[32:33], off
.LBB0_128:
	.loc	1 0 20 is_stmt 0                ; groupnorm_aot.py:0:20
	s_or_b64 exec, exec, s[0:1]
.Ltmp2:
	.file	2 "/root/.local/lib/python3.13/site-packages/triton/language" "standard.py"
	.loc	2 263 15 is_stmt 1              ; standard.py:263:15 @[ standard.py:293:36 @[ groupnorm_aot.py:45:18 ] ]
	s_waitcnt vmcnt(0)
	v_add_f32_e32 v21, v131, v130
	v_add_f32_e32 v21, v21, v133
	v_add_f32_e32 v21, v21, v132
	v_add_f32_e32 v21, v21, v135
	v_add_f32_e32 v21, v21, v134
	v_add_f32_e32 v21, v21, v137
	v_add_f32_e32 v21, v21, v136
	v_add_f32_e32 v21, v21, v138
	v_add_f32_e32 v21, v21, v1
	v_add_f32_e32 v21, v21, v140
	v_add_f32_e32 v21, v21, v139
	v_add_f32_e32 v21, v21, v142
	v_add_f32_e32 v21, v21, v141
	v_add_f32_e32 v21, v21, v144
	v_add_f32_e32 v21, v21, v143
	v_add_f32_e32 v21, v21, v146
	v_add_f32_e32 v21, v21, v145
	v_add_f32_e32 v21, v21, v148
	v_add_f32_e32 v21, v21, v147
	v_add_f32_e32 v21, v21, v150
	v_add_f32_e32 v21, v21, v149
	v_add_f32_e32 v21, v21, v152
	v_add_f32_e32 v21, v21, v151
	v_add_f32_e32 v21, v21, v154
	v_add_f32_e32 v21, v21, v153
	v_add_f32_e32 v21, v21, v156
	v_add_f32_e32 v21, v21, v155
	v_add_f32_e32 v21, v21, v158
	v_add_f32_e32 v21, v21, v157
	v_add_f32_e32 v21, v21, v160
	v_add_f32_e32 v21, v21, v159
	v_add_f32_e32 v21, v21, v162
	v_add_f32_e32 v21, v21, v161
	v_add_f32_e32 v21, v21, v164
	v_add_f32_e32 v21, v21, v163
	v_add_f32_e32 v21, v21, v4
	v_add_f32_e32 v21, v21, v165
	v_add_f32_e32 v21, v21, v6
	v_add_f32_e32 v21, v21, v5
	v_add_f32_e32 v21, v21, v8
	v_add_f32_e32 v21, v21, v7
	v_add_f32_e32 v21, v21, v10
	v_add_f32_e32 v21, v21, v9
	v_add_f32_e32 v21, v21, v12
	v_add_f32_e32 v21, v21, v11
	v_add_f32_e32 v21, v21, v14
	v_add_f32_e32 v21, v21, v13
	v_add_f32_e32 v21, v21, v16
	v_add_f32_e32 v21, v21, v15
	v_add_f32_e32 v21, v21, v18
	v_add_f32_e32 v21, v21, v17
	v_add_f32_e32 v21, v21, v20
	v_add_f32_e32 v21, v21, v19
	v_add_f32_e32 v21, v21, v23
	v_add_f32_e32 v21, v21, v22
	v_add_f32_e32 v21, v21, v25
	v_add_f32_e32 v21, v21, v24
	v_add_f32_e32 v21, v21, v27
	v_add_f32_e32 v21, v21, v26
	v_add_f32_e32 v21, v21, v29
	v_add_f32_e32 v21, v21, v28
	v_add_f32_e32 v21, v21, v31
	v_add_f32_e32 v21, v21, v30
.Ltmp3:
	.loc	2 293 36                        ; standard.py:293:36 @[ groupnorm_aot.py:45:18 ]
	s_lshr_b32 s2, s88, 4
	s_and_b32 s2, s2, 12
.Ltmp4:
	.loc	2 263 15                        ; standard.py:263:15 @[ standard.py:293:36 @[ groupnorm_aot.py:45:18 ] ]
	v_add_f32_dpp v21, v21, v21 row_shr:8 row_mask:0xf bank_mask:0xf bound_ctrl:1
.Ltmp5:
	.loc	2 293 36                        ; standard.py:293:36 @[ groupnorm_aot.py:45:18 ]
	v_cmp_eq_u32_e64 s[0:1], 0, v34
	v_writelane_b32 v255, s88, 54
.Ltmp6:
	.loc	2 263 15                        ; standard.py:263:15 @[ standard.py:293:36 @[ groupnorm_aot.py:45:18 ] ]
	v_add_f32_dpp v21, v21, v21 row_shr:4 row_mask:0xf bank_mask:0xf bound_ctrl:1
.Ltmp7:
	.loc	2 293 36                        ; standard.py:293:36 @[ groupnorm_aot.py:45:18 ]
	s_add_i32 s15, s2, 0
.Ltmp8:
	.loc	2 263 15                        ; standard.py:263:15 @[ standard.py:293:36 @[ groupnorm_aot.py:45:18 ] ]
	s_nop 0
	v_add_f32_dpp v21, v21, v21 row_shr:2 row_mask:0xf bank_mask:0xf bound_ctrl:1
	s_nop 1
	v_add_f32_dpp v21, v21, v21 row_shr:1 row_mask:0xf bank_mask:0xf bound_ctrl:1
.Ltmp9:
	.loc	2 293 36                        ; standard.py:293:36 @[ groupnorm_aot.py:45:18 ]
	v_mov_b32_e32 v32, v21
	s_nop 1
	v_mov_b32_dpp v32, v32 row_bcast:15 row_mask:0xa bank_mask:0xf bound_ctrl:1
.Ltmp10:
	.loc	2 263 15                        ; standard.py:263:15 @[ standard.py:293:36 @[ groupnorm_aot.py:45:18 ] ]
	v_add_f32_e32 v21, v32, v21
	s_nop 1
	v_add_f32_dpp v21, v21, v21 row_bcast:31 row_mask:0xf bank_mask:0xf bound_ctrl:1
.Ltmp11:
	.loc	2 293 36                        ; standard.py:293:36 @[ groupnorm_aot.py:45:18 ]
	s_nop 0
	v_readlane_b32 s86, v21, 63
	s_and_saveexec_b64 s[2:3], s[0:1]
; %bb.129:
	v_mov_b32_e32 v21, s15
	v_mov_b32_e32 v32, s86
	ds_write_b32 v21, v32
; %bb.130:
	.loc	2 0 36 is_stmt 0                ; standard.py:0:36
	s_or_b64 exec, exec, s[2:3]
	.loc	2 293 36                        ; standard.py:293:36 @[ groupnorm_aot.py:45:18 ]
	v_cmp_gt_u32_e64 s[2:3], 4, v0
	v_lshl_add_u32 v21, v0, 2, 0
.Ltmp12:
	.loc	1 45 18 is_stmt 1               ; groupnorm_aot.py:45:18
	v_mov_b32_e32 v32, 0
.Ltmp13:
	.loc	2 293 36                        ; standard.py:293:36 @[ groupnorm_aot.py:45:18 ]
	s_waitcnt lgkmcnt(0)
	s_barrier
	s_and_saveexec_b64 s[86:87], s[2:3]
; %bb.131:
	ds_read_b32 v32, v21
; %bb.132:
	.loc	2 0 36 is_stmt 0                ; standard.py:0:36
	s_or_b64 exec, exec, s[86:87]
	.loc	2 293 36                        ; standard.py:293:36 @[ groupnorm_aot.py:45:18 ]
	s_waitcnt lgkmcnt(0)
	v_mov_b32_e32 v33, v32
	v_and_b32_e32 v0, 3, v0
	v_cmp_eq_u32_e32 vcc, 0, v0
	v_mov_b32_dpp v33, v33 quad_perm:[2,3,0,1] row_mask:0xf bank_mask:0xf
.Ltmp14:
	.loc	2 263 15 is_stmt 1              ; standard.py:263:15 @[ standard.py:293:36 @[ groupnorm_aot.py:45:18 ] ]
	v_add_f32_e32 v32, v32, v33
.Ltmp15:
	.loc	2 293 36                        ; standard.py:293:36 @[ groupnorm_aot.py:45:18 ]
	v_mov_b32_e32 v33, v32
	s_and_b64 s[86:87], s[2:3], vcc
	s_nop 0
	v_mov_b32_dpp v33, v33 quad_perm:[1,0,3,2] row_mask:0xf bank_mask:0xf
	s_and_saveexec_b64 s[88:89], s[86:87]
; %bb.133:
	.loc	2 0 36 is_stmt 0                ; standard.py:0:36
	v_add_f32_e32 v0, v32, v33
	.loc	2 293 36                        ; standard.py:293:36 @[ groupnorm_aot.py:45:18 ]
	ds_write_b32 v21, v0
; %bb.134:
	.loc	2 0 36                          ; standard.py:0:36
	s_or_b64 exec, exec, s[88:89]
	.loc	2 293 36                        ; standard.py:293:36 @[ groupnorm_aot.py:45:18 ]
	v_mov_b32_e32 v0, 0
	s_waitcnt lgkmcnt(0)
	s_barrier
	ds_read_b32 v0, v0
.Ltmp16:
	.loc	1 45 27 is_stmt 1               ; groupnorm_aot.py:45:27
	v_cvt_f32_i32_e32 v188, s33
.Ltmp17:
	.loc	2 293 36                        ; standard.py:293:36 @[ groupnorm_aot.py:48:17 ]
	s_waitcnt lgkmcnt(0)
	s_barrier
.Ltmp18:
	.loc	1 45 27                         ; groupnorm_aot.py:45:27
	v_div_scale_f32 v32, s[88:89], v188, v188, v0
	v_rcp_f32_e32 v33, v32
	.loc	1 46 40                         ; groupnorm_aot.py:46:40
	v_readlane_b32 s88, v253, 14
	v_readlane_b32 s89, v253, 15
	.loc	1 45 27                         ; groupnorm_aot.py:45:27
	v_fma_f32 v166, -v32, v33, 1.0
	v_fmac_f32_e32 v33, v166, v33
	v_div_scale_f32 v166, vcc, v0, v188, v0
	v_mul_f32_e32 v167, v166, v33
	v_fma_f32 v168, -v32, v167, v166
	v_fmac_f32_e32 v167, v168, v33
	v_fma_f32 v32, -v32, v167, v166
	v_div_fmas_f32 v32, v32, v33, v167
	v_div_fixup_f32 v0, v32, v188, v0
	.loc	1 46 34                         ; groupnorm_aot.py:46:34
	v_sub_f32_e32 v32, v131, v0
	.loc	1 46 40 is_stmt 0               ; groupnorm_aot.py:46:40
	v_cndmask_b32_e64 v194, 0, v32, s[88:89]
	v_readlane_b32 s88, v253, 18
	.loc	1 46 34                         ; groupnorm_aot.py:46:34
	v_sub_f32_e32 v33, v130, v0
	.loc	1 46 40                         ; groupnorm_aot.py:46:40
	v_readlane_b32 s89, v253, 19
	.loc	1 46 34                         ; groupnorm_aot.py:46:34
	v_sub_f32_e32 v130, v133, v0
	v_sub_f32_e32 v131, v132, v0
	.loc	1 46 40                         ; groupnorm_aot.py:46:40
	v_cndmask_b32_e64 v193, 0, v33, s[88:89]
	v_readlane_b32 s88, v253, 22
	v_readlane_b32 s89, v253, 23
	.loc	1 46 34                         ; groupnorm_aot.py:46:34
	v_sub_f32_e32 v132, v135, v0
	v_sub_f32_e32 v133, v134, v0
	.loc	1 46 40                         ; groupnorm_aot.py:46:40
	v_cndmask_b32_e64 v192, 0, v130, s[88:89]
	v_readlane_b32 s88, v253, 26
	v_readlane_b32 s89, v253, 27
	.loc	1 46 34                         ; groupnorm_aot.py:46:34
	v_sub_f32_e32 v134, v137, v0
	v_sub_f32_e32 v135, v136, v0
	.loc	1 46 40                         ; groupnorm_aot.py:46:40
	v_cndmask_b32_e64 v191, 0, v131, s[88:89]
	v_readlane_b32 s88, v253, 30
	v_readlane_b32 s89, v253, 31
	.loc	1 46 34                         ; groupnorm_aot.py:46:34
	v_sub_f32_e32 v136, v138, v0
	v_sub_f32_e32 v1, v1, v0
	.loc	1 46 40                         ; groupnorm_aot.py:46:40
	v_cndmask_b32_e64 v190, 0, v132, s[88:89]
	v_readlane_b32 s88, v253, 34
	v_readlane_b32 s89, v253, 35
	.loc	1 46 34                         ; groupnorm_aot.py:46:34
	v_sub_f32_e32 v137, v140, v0
	v_sub_f32_e32 v138, v139, v0
	.loc	1 46 40                         ; groupnorm_aot.py:46:40
	v_cndmask_b32_e64 v189, 0, v133, s[88:89]
	v_readlane_b32 s88, v253, 38
	v_readlane_b32 s89, v253, 39
	.loc	1 46 34                         ; groupnorm_aot.py:46:34
	v_sub_f32_e32 v139, v142, v0
	v_sub_f32_e32 v140, v141, v0
	.loc	1 46 40                         ; groupnorm_aot.py:46:40
	v_cndmask_b32_e64 v187, 0, v134, s[88:89]
	v_readlane_b32 s88, v253, 42
	v_readlane_b32 s89, v253, 43
	.loc	1 46 34                         ; groupnorm_aot.py:46:34
	v_sub_f32_e32 v141, v144, v0
	v_sub_f32_e32 v142, v143, v0
	.loc	1 46 40                         ; groupnorm_aot.py:46:40
	v_cndmask_b32_e64 v186, 0, v135, s[88:89]
	v_readlane_b32 s88, v253, 46
	v_readlane_b32 s89, v253, 47
	.loc	1 46 34                         ; groupnorm_aot.py:46:34
	v_sub_f32_e32 v143, v146, v0
	v_sub_f32_e32 v144, v145, v0
	.loc	1 46 40                         ; groupnorm_aot.py:46:40
	v_cndmask_b32_e64 v185, 0, v136, s[88:89]
	v_readlane_b32 s88, v253, 50
	v_readlane_b32 s89, v253, 51
	.loc	1 46 34                         ; groupnorm_aot.py:46:34
	v_sub_f32_e32 v145, v148, v0
	v_sub_f32_e32 v146, v147, v0
	.loc	1 46 40                         ; groupnorm_aot.py:46:40
	v_cndmask_b32_e64 v184, 0, v1, s[88:89]
	v_readlane_b32 s88, v253, 54
	v_readlane_b32 s89, v253, 55
	.loc	1 46 34                         ; groupnorm_aot.py:46:34
	v_sub_f32_e32 v147, v150, v0
	v_sub_f32_e32 v148, v149, v0
	.loc	1 46 40                         ; groupnorm_aot.py:46:40
	v_cndmask_b32_e64 v183, 0, v137, s[88:89]
	v_readlane_b32 s88, v253, 58
	v_readlane_b32 s89, v253, 59
	.loc	1 46 34                         ; groupnorm_aot.py:46:34
	v_sub_f32_e32 v149, v152, v0
	v_sub_f32_e32 v150, v151, v0
	.loc	1 46 40                         ; groupnorm_aot.py:46:40
	v_cndmask_b32_e64 v182, 0, v138, s[88:89]
	v_readlane_b32 s88, v253, 62
	v_readlane_b32 s89, v253, 63
	.loc	1 46 34                         ; groupnorm_aot.py:46:34
	v_sub_f32_e32 v151, v154, v0
	v_sub_f32_e32 v154, v155, v0
	.loc	1 46 40                         ; groupnorm_aot.py:46:40
	v_cndmask_b32_e64 v181, 0, v139, s[88:89]
	v_readlane_b32 s88, v254, 2
	v_readlane_b32 s89, v254, 3
	.loc	1 46 34                         ; groupnorm_aot.py:46:34
	v_sub_f32_e32 v155, v158, v0
	v_sub_f32_e32 v158, v159, v0
	.loc	1 46 40                         ; groupnorm_aot.py:46:40
	v_cndmask_b32_e64 v180, 0, v140, s[88:89]
	v_readlane_b32 s88, v254, 6
	v_readlane_b32 s89, v254, 7
	.loc	1 46 34                         ; groupnorm_aot.py:46:34
	v_sub_f32_e32 v159, v162, v0
	v_sub_f32_e32 v162, v163, v0
	.loc	1 46 40                         ; groupnorm_aot.py:46:40
	v_cndmask_b32_e64 v179, 0, v141, s[88:89]
	v_readlane_b32 s88, v254, 10
	v_readlane_b32 s89, v254, 11
	.loc	1 46 34                         ; groupnorm_aot.py:46:34
	v_sub_f32_e32 v163, v165, v0
	v_sub_f32_e32 v152, v153, v0
	.loc	1 46 40                         ; groupnorm_aot.py:46:40
	v_cndmask_b32_e64 v178, 0, v142, s[88:89]
	v_readlane_b32 s88, v254, 14
	v_readlane_b32 s89, v254, 15
	.loc	1 46 34                         ; groupnorm_aot.py:46:34
	v_sub_f32_e32 v153, v156, v0
	v_sub_f32_e32 v156, v157, v0
	.loc	1 46 40                         ; groupnorm_aot.py:46:40
	v_cndmask_b32_e64 v177, 0, v143, s[88:89]
	v_readlane_b32 s88, v254, 18
	v_readlane_b32 s89, v254, 19
	.loc	1 46 34                         ; groupnorm_aot.py:46:34
	v_sub_f32_e32 v157, v160, v0
	v_sub_f32_e32 v160, v161, v0
	.loc	1 46 40                         ; groupnorm_aot.py:46:40
	v_cndmask_b32_e64 v176, 0, v144, s[88:89]
	v_readlane_b32 s88, v254, 22
	v_readlane_b32 s89, v254, 23
	.loc	1 46 34                         ; groupnorm_aot.py:46:34
	v_sub_f32_e32 v161, v164, v0
	.loc	1 48 21 is_stmt 1               ; groupnorm_aot.py:48:21
	v_mul_f32_e32 v1, v193, v193
	.loc	1 46 40                         ; groupnorm_aot.py:46:40
	v_cndmask_b32_e64 v175, 0, v145, s[88:89]
	v_readlane_b32 s88, v254, 26
	v_readlane_b32 s89, v254, 27
.Ltmp19:
	.loc	2 263 15                        ; standard.py:263:15 @[ standard.py:293:36 @[ groupnorm_aot.py:48:17 ] ]
	v_fmac_f32_e32 v1, v194, v194
	v_fmac_f32_e32 v1, v192, v192
.Ltmp20:
	.loc	1 46 40                         ; groupnorm_aot.py:46:40
	v_cndmask_b32_e64 v174, 0, v146, s[88:89]
	v_readlane_b32 s88, v254, 30
	v_readlane_b32 s89, v254, 31
.Ltmp21:
	.loc	2 263 15                        ; standard.py:263:15 @[ standard.py:293:36 @[ groupnorm_aot.py:48:17 ] ]
	v_fmac_f32_e32 v1, v191, v191
	v_fmac_f32_e32 v1, v190, v190
.Ltmp22:
	.loc	1 46 40                         ; groupnorm_aot.py:46:40
	v_cndmask_b32_e64 v173, 0, v147, s[88:89]
	v_readlane_b32 s88, v254, 32
	v_readlane_b32 s89, v254, 33
.Ltmp23:
	.loc	2 263 15                        ; standard.py:263:15 @[ standard.py:293:36 @[ groupnorm_aot.py:48:17 ] ]
	v_fmac_f32_e32 v1, v189, v189
	v_fmac_f32_e32 v1, v187, v187
.Ltmp24:
	.loc	1 46 40                         ; groupnorm_aot.py:46:40
	v_cndmask_b32_e64 v172, 0, v148, s[88:89]
	v_readlane_b32 s88, v254, 34
	v_readlane_b32 s89, v254, 35
	.loc	1 46 34 is_stmt 0               ; groupnorm_aot.py:46:34
	v_sub_f32_e32 v4, v4, v0
.Ltmp25:
	.loc	2 263 15 is_stmt 1              ; standard.py:263:15 @[ standard.py:293:36 @[ groupnorm_aot.py:48:17 ] ]
	v_fmac_f32_e32 v1, v186, v186
.Ltmp26:
	.loc	1 46 40                         ; groupnorm_aot.py:46:40
	v_cndmask_b32_e64 v171, 0, v149, s[88:89]
	v_readlane_b32 s88, v254, 36
	v_readlane_b32 s89, v254, 37
.Ltmp27:
	.loc	2 263 15                        ; standard.py:263:15 @[ standard.py:293:36 @[ groupnorm_aot.py:48:17 ] ]
	v_fmac_f32_e32 v1, v185, v185
	v_fmac_f32_e32 v1, v184, v184
.Ltmp28:
	.loc	1 46 40                         ; groupnorm_aot.py:46:40
	v_cndmask_b32_e64 v165, 0, v150, s[88:89]
	v_readlane_b32 s88, v254, 38
	v_readlane_b32 s89, v254, 39
.Ltmp29:
	.loc	2 263 15                        ; standard.py:263:15 @[ standard.py:293:36 @[ groupnorm_aot.py:48:17 ] ]
	v_fmac_f32_e32 v1, v183, v183
.Ltmp30:
	.loc	1 46 34                         ; groupnorm_aot.py:46:34
	v_sub_f32_e32 v6, v6, v0
	.loc	1 46 40 is_stmt 0               ; groupnorm_aot.py:46:40
	v_cndmask_b32_e64 v164, 0, v151, s[88:89]
	v_readlane_b32 s88, v254, 40
	v_readlane_b32 s89, v254, 41
.Ltmp31:
	.loc	2 263 15 is_stmt 1              ; standard.py:263:15 @[ standard.py:293:36 @[ groupnorm_aot.py:48:17 ] ]
	v_fmac_f32_e32 v1, v182, v182
	v_fmac_f32_e32 v1, v181, v181
.Ltmp32:
	.loc	1 46 40                         ; groupnorm_aot.py:46:40
	v_cndmask_b32_e64 v151, 0, v152, s[88:89]
	v_readlane_b32 s88, v254, 42
	v_readlane_b32 s89, v254, 43
	.loc	1 46 34 is_stmt 0               ; groupnorm_aot.py:46:34
	v_sub_f32_e32 v5, v5, v0
.Ltmp33:
	.loc	2 263 15 is_stmt 1              ; standard.py:263:15 @[ standard.py:293:36 @[ groupnorm_aot.py:48:17 ] ]
	v_fmac_f32_e32 v1, v180, v180
.Ltmp34:
	.loc	1 46 40                         ; groupnorm_aot.py:46:40
	v_cndmask_b32_e64 v150, 0, v153, s[88:89]
	v_readlane_b32 s88, v254, 44
	v_readlane_b32 s89, v254, 45
.Ltmp35:
	.loc	2 263 15                        ; standard.py:263:15 @[ standard.py:293:36 @[ groupnorm_aot.py:48:17 ] ]
	v_fmac_f32_e32 v1, v179, v179
.Ltmp36:
	.loc	1 46 34                         ; groupnorm_aot.py:46:34
	v_sub_f32_e32 v8, v8, v0
	.loc	1 46 40 is_stmt 0               ; groupnorm_aot.py:46:40
	v_cndmask_b32_e64 v149, 0, v154, s[88:89]
	v_readlane_b32 s88, v254, 46
	v_readlane_b32 s89, v254, 47
.Ltmp37:
	.loc	2 263 15 is_stmt 1              ; standard.py:263:15 @[ standard.py:293:36 @[ groupnorm_aot.py:48:17 ] ]
	v_fmac_f32_e32 v1, v178, v178
	v_fmac_f32_e32 v1, v177, v177
.Ltmp38:
	.loc	1 46 40                         ; groupnorm_aot.py:46:40
	v_cndmask_b32_e64 v148, 0, v155, s[88:89]
	v_readlane_b32 s88, v254, 48
	v_readlane_b32 s89, v254, 49
	.loc	1 46 34 is_stmt 0               ; groupnorm_aot.py:46:34
	v_sub_f32_e32 v7, v7, v0
.Ltmp39:
	.loc	2 263 15 is_stmt 1              ; standard.py:263:15 @[ standard.py:293:36 @[ groupnorm_aot.py:48:17 ] ]
	v_fmac_f32_e32 v1, v176, v176
.Ltmp40:
	.loc	1 46 40                         ; groupnorm_aot.py:46:40
	v_cndmask_b32_e64 v147, 0, v156, s[88:89]
	v_readlane_b32 s88, v254, 50
	v_readlane_b32 s89, v254, 51
.Ltmp41:
	.loc	2 263 15                        ; standard.py:263:15 @[ standard.py:293:36 @[ groupnorm_aot.py:48:17 ] ]
	v_fmac_f32_e32 v1, v175, v175
.Ltmp42:
	.loc	1 46 34                         ; groupnorm_aot.py:46:34
	v_sub_f32_e32 v10, v10, v0
	.loc	1 46 40 is_stmt 0               ; groupnorm_aot.py:46:40
	v_cndmask_b32_e64 v146, 0, v157, s[88:89]
	v_readlane_b32 s88, v254, 52
	v_readlane_b32 s89, v254, 53
.Ltmp43:
	.loc	2 263 15 is_stmt 1              ; standard.py:263:15 @[ standard.py:293:36 @[ groupnorm_aot.py:48:17 ] ]
	v_fmac_f32_e32 v1, v174, v174
	v_fmac_f32_e32 v1, v173, v173
.Ltmp44:
	.loc	1 46 40                         ; groupnorm_aot.py:46:40
	v_cndmask_b32_e64 v145, 0, v158, s[88:89]
	v_readlane_b32 s88, v254, 54
	v_readlane_b32 s89, v254, 55
	.loc	1 46 34 is_stmt 0               ; groupnorm_aot.py:46:34
	v_sub_f32_e32 v9, v9, v0
.Ltmp45:
	.loc	2 263 15 is_stmt 1              ; standard.py:263:15 @[ standard.py:293:36 @[ groupnorm_aot.py:48:17 ] ]
	v_fmac_f32_e32 v1, v172, v172
.Ltmp46:
	.loc	1 46 40                         ; groupnorm_aot.py:46:40
	v_cndmask_b32_e64 v144, 0, v159, s[88:89]
	v_readlane_b32 s88, v254, 56
	v_readlane_b32 s89, v254, 57
.Ltmp47:
	.loc	2 263 15                        ; standard.py:263:15 @[ standard.py:293:36 @[ groupnorm_aot.py:48:17 ] ]
	v_fmac_f32_e32 v1, v171, v171
.Ltmp48:
	.loc	1 46 34                         ; groupnorm_aot.py:46:34
	v_sub_f32_e32 v12, v12, v0
	.loc	1 46 40 is_stmt 0               ; groupnorm_aot.py:46:40
	v_cndmask_b32_e64 v143, 0, v160, s[88:89]
	v_readlane_b32 s88, v254, 58
	v_readlane_b32 s89, v254, 59
.Ltmp49:
	.loc	2 263 15 is_stmt 1              ; standard.py:263:15 @[ standard.py:293:36 @[ groupnorm_aot.py:48:17 ] ]
	v_fmac_f32_e32 v1, v165, v165
	v_fmac_f32_e32 v1, v164, v164
.Ltmp50:
	.loc	1 46 40                         ; groupnorm_aot.py:46:40
	v_cndmask_b32_e64 v142, 0, v161, s[88:89]
	v_readlane_b32 s88, v254, 60
	v_readlane_b32 s89, v254, 61
	.loc	1 46 34 is_stmt 0               ; groupnorm_aot.py:46:34
	v_sub_f32_e32 v11, v11, v0
.Ltmp51:
	.loc	2 263 15 is_stmt 1              ; standard.py:263:15 @[ standard.py:293:36 @[ groupnorm_aot.py:48:17 ] ]
	v_fmac_f32_e32 v1, v151, v151
.Ltmp52:
	.loc	1 46 40                         ; groupnorm_aot.py:46:40
	v_cndmask_b32_e64 v141, 0, v162, s[88:89]
	v_readlane_b32 s88, v254, 62
	v_readlane_b32 s89, v254, 63
.Ltmp53:
	.loc	2 263 15                        ; standard.py:263:15 @[ standard.py:293:36 @[ groupnorm_aot.py:48:17 ] ]
	v_fmac_f32_e32 v1, v150, v150
.Ltmp54:
	.loc	1 46 34                         ; groupnorm_aot.py:46:34
	v_sub_f32_e32 v14, v14, v0
	.loc	1 46 40 is_stmt 0               ; groupnorm_aot.py:46:40
	v_cndmask_b32_e64 v140, 0, v4, s[88:89]
	v_readlane_b32 s88, v255, 0
	v_readlane_b32 s89, v255, 1
.Ltmp55:
	.loc	2 263 15 is_stmt 1              ; standard.py:263:15 @[ standard.py:293:36 @[ groupnorm_aot.py:48:17 ] ]
	v_fmac_f32_e32 v1, v149, v149
	v_fmac_f32_e32 v1, v148, v148
.Ltmp56:
	.loc	1 46 40                         ; groupnorm_aot.py:46:40
	v_cndmask_b32_e64 v139, 0, v163, s[88:89]
	v_readlane_b32 s88, v255, 2
	v_readlane_b32 s89, v255, 3
	.loc	1 46 34 is_stmt 0               ; groupnorm_aot.py:46:34
	v_sub_f32_e32 v13, v13, v0
.Ltmp57:
	.loc	2 263 15 is_stmt 1              ; standard.py:263:15 @[ standard.py:293:36 @[ groupnorm_aot.py:48:17 ] ]
	v_fmac_f32_e32 v1, v147, v147
.Ltmp58:
	.loc	1 46 40                         ; groupnorm_aot.py:46:40
	v_cndmask_b32_e64 v138, 0, v6, s[88:89]
	v_readlane_b32 s88, v255, 4
	v_readlane_b32 s89, v255, 5
.Ltmp59:
	.loc	2 263 15                        ; standard.py:263:15 @[ standard.py:293:36 @[ groupnorm_aot.py:48:17 ] ]
	v_fmac_f32_e32 v1, v146, v146
.Ltmp60:
	.loc	1 46 34                         ; groupnorm_aot.py:46:34
	v_sub_f32_e32 v16, v16, v0
	.loc	1 46 40 is_stmt 0               ; groupnorm_aot.py:46:40
	v_cndmask_b32_e64 v137, 0, v5, s[88:89]
	v_readlane_b32 s88, v255, 6
	v_readlane_b32 s89, v255, 7
.Ltmp61:
	.loc	2 263 15 is_stmt 1              ; standard.py:263:15 @[ standard.py:293:36 @[ groupnorm_aot.py:48:17 ] ]
	v_fmac_f32_e32 v1, v145, v145
	v_fmac_f32_e32 v1, v144, v144
.Ltmp62:
	.loc	1 46 40                         ; groupnorm_aot.py:46:40
	v_cndmask_b32_e64 v136, 0, v8, s[88:89]
	v_readlane_b32 s88, v255, 8
	v_readlane_b32 s89, v255, 9
	.loc	1 46 34 is_stmt 0               ; groupnorm_aot.py:46:34
	v_sub_f32_e32 v15, v15, v0
.Ltmp63:
	.loc	2 263 15 is_stmt 1              ; standard.py:263:15 @[ standard.py:293:36 @[ groupnorm_aot.py:48:17 ] ]
	v_fmac_f32_e32 v1, v143, v143
.Ltmp64:
	.loc	1 46 40                         ; groupnorm_aot.py:46:40
	v_cndmask_b32_e64 v135, 0, v7, s[88:89]
	v_readlane_b32 s88, v255, 10
	v_readlane_b32 s89, v255, 11
.Ltmp65:
	.loc	2 263 15                        ; standard.py:263:15 @[ standard.py:293:36 @[ groupnorm_aot.py:48:17 ] ]
	v_fmac_f32_e32 v1, v142, v142
.Ltmp66:
	.loc	1 46 34                         ; groupnorm_aot.py:46:34
	v_sub_f32_e32 v18, v18, v0
	.loc	1 46 40 is_stmt 0               ; groupnorm_aot.py:46:40
	v_cndmask_b32_e64 v134, 0, v10, s[88:89]
	v_readlane_b32 s88, v255, 12
	v_readlane_b32 s89, v255, 13
.Ltmp67:
	.loc	2 263 15 is_stmt 1              ; standard.py:263:15 @[ standard.py:293:36 @[ groupnorm_aot.py:48:17 ] ]
	v_fmac_f32_e32 v1, v141, v141
	v_fmac_f32_e32 v1, v140, v140
.Ltmp68:
	.loc	1 46 40                         ; groupnorm_aot.py:46:40
	v_cndmask_b32_e64 v133, 0, v9, s[88:89]
	v_readlane_b32 s88, v255, 14
	v_readlane_b32 s89, v255, 15
	.loc	1 46 34 is_stmt 0               ; groupnorm_aot.py:46:34
	v_sub_f32_e32 v17, v17, v0
.Ltmp69:
	.loc	2 263 15 is_stmt 1              ; standard.py:263:15 @[ standard.py:293:36 @[ groupnorm_aot.py:48:17 ] ]
	v_fmac_f32_e32 v1, v139, v139
.Ltmp70:
	.loc	1 46 40                         ; groupnorm_aot.py:46:40
	v_cndmask_b32_e64 v132, 0, v12, s[88:89]
	v_readlane_b32 s88, v255, 16
	v_readlane_b32 s89, v255, 17
.Ltmp71:
	.loc	2 263 15                        ; standard.py:263:15 @[ standard.py:293:36 @[ groupnorm_aot.py:48:17 ] ]
	v_fmac_f32_e32 v1, v138, v138
.Ltmp72:
	.loc	1 46 34                         ; groupnorm_aot.py:46:34
	v_sub_f32_e32 v20, v20, v0
	.loc	1 46 40 is_stmt 0               ; groupnorm_aot.py:46:40
	v_cndmask_b32_e64 v131, 0, v11, s[88:89]
	v_readlane_b32 s88, v255, 18
	v_readlane_b32 s89, v255, 19
.Ltmp73:
	.loc	2 263 15 is_stmt 1              ; standard.py:263:15 @[ standard.py:293:36 @[ groupnorm_aot.py:48:17 ] ]
	v_fmac_f32_e32 v1, v137, v137
	v_fmac_f32_e32 v1, v136, v136
.Ltmp74:
	.loc	1 46 40                         ; groupnorm_aot.py:46:40
	v_cndmask_b32_e64 v130, 0, v14, s[88:89]
	v_readlane_b32 s88, v255, 20
	v_readlane_b32 s89, v255, 21
	.loc	1 46 34 is_stmt 0               ; groupnorm_aot.py:46:34
	v_sub_f32_e32 v19, v19, v0
.Ltmp75:
	.loc	2 263 15 is_stmt 1              ; standard.py:263:15 @[ standard.py:293:36 @[ groupnorm_aot.py:48:17 ] ]
	v_fmac_f32_e32 v1, v135, v135
.Ltmp76:
	.loc	1 46 40                         ; groupnorm_aot.py:46:40
	v_cndmask_b32_e64 v35, 0, v13, s[88:89]
	v_readlane_b32 s88, v255, 22
	v_readlane_b32 s89, v255, 23
.Ltmp77:
	.loc	2 263 15                        ; standard.py:263:15 @[ standard.py:293:36 @[ groupnorm_aot.py:48:17 ] ]
	v_fmac_f32_e32 v1, v134, v134
.Ltmp78:
	.loc	1 46 34                         ; groupnorm_aot.py:46:34
	v_sub_f32_e32 v23, v23, v0
	.loc	1 46 40 is_stmt 0               ; groupnorm_aot.py:46:40
	v_cndmask_b32_e64 v33, 0, v16, s[88:89]
	v_readlane_b32 s88, v255, 24
	v_readlane_b32 s89, v255, 25
.Ltmp79:
	.loc	2 263 15 is_stmt 1              ; standard.py:263:15 @[ standard.py:293:36 @[ groupnorm_aot.py:48:17 ] ]
	v_fmac_f32_e32 v1, v133, v133
	v_fmac_f32_e32 v1, v132, v132
.Ltmp80:
	.loc	1 46 40                         ; groupnorm_aot.py:46:40
	v_cndmask_b32_e64 v32, 0, v15, s[88:89]
	v_readlane_b32 s88, v255, 26
	v_readlane_b32 s89, v255, 27
	.loc	1 46 34 is_stmt 0               ; groupnorm_aot.py:46:34
	v_sub_f32_e32 v22, v22, v0
.Ltmp81:
	.loc	2 263 15 is_stmt 1              ; standard.py:263:15 @[ standard.py:293:36 @[ groupnorm_aot.py:48:17 ] ]
	v_fmac_f32_e32 v1, v131, v131
.Ltmp82:
	.loc	1 46 40                         ; groupnorm_aot.py:46:40
	v_cndmask_b32_e64 v18, 0, v18, s[88:89]
	v_readlane_b32 s88, v255, 28
	v_readlane_b32 s89, v255, 29
.Ltmp83:
	.loc	2 263 15                        ; standard.py:263:15 @[ standard.py:293:36 @[ groupnorm_aot.py:48:17 ] ]
	v_fmac_f32_e32 v1, v130, v130
.Ltmp84:
	.loc	1 46 34                         ; groupnorm_aot.py:46:34
	v_sub_f32_e32 v25, v25, v0
	.loc	1 46 40 is_stmt 0               ; groupnorm_aot.py:46:40
	v_cndmask_b32_e64 v16, 0, v17, s[88:89]
	v_readlane_b32 s88, v255, 30
	v_readlane_b32 s89, v255, 31
.Ltmp85:
	.loc	2 263 15 is_stmt 1              ; standard.py:263:15 @[ standard.py:293:36 @[ groupnorm_aot.py:48:17 ] ]
	v_fmac_f32_e32 v1, v35, v35
	v_fmac_f32_e32 v1, v33, v33
.Ltmp86:
	.loc	1 46 40                         ; groupnorm_aot.py:46:40
	v_cndmask_b32_e64 v15, 0, v20, s[88:89]
	v_readlane_b32 s88, v255, 32
	v_readlane_b32 s89, v255, 33
	.loc	1 46 34 is_stmt 0               ; groupnorm_aot.py:46:34
	v_sub_f32_e32 v24, v24, v0
.Ltmp87:
	.loc	2 263 15 is_stmt 1              ; standard.py:263:15 @[ standard.py:293:36 @[ groupnorm_aot.py:48:17 ] ]
	v_fmac_f32_e32 v1, v32, v32
.Ltmp88:
	.loc	1 46 40                         ; groupnorm_aot.py:46:40
	v_cndmask_b32_e64 v14, 0, v19, s[88:89]
	v_readlane_b32 s88, v255, 34
	v_readlane_b32 s89, v255, 35
.Ltmp89:
	.loc	2 263 15                        ; standard.py:263:15 @[ standard.py:293:36 @[ groupnorm_aot.py:48:17 ] ]
	v_fmac_f32_e32 v1, v18, v18
.Ltmp90:
	.loc	1 46 34                         ; groupnorm_aot.py:46:34
	v_sub_f32_e32 v27, v27, v0
	.loc	1 46 40 is_stmt 0               ; groupnorm_aot.py:46:40
	v_cndmask_b32_e64 v13, 0, v23, s[88:89]
	v_readlane_b32 s88, v255, 36
	v_readlane_b32 s89, v255, 37
.Ltmp91:
	.loc	2 263 15 is_stmt 1              ; standard.py:263:15 @[ standard.py:293:36 @[ groupnorm_aot.py:48:17 ] ]
	v_fmac_f32_e32 v1, v16, v16
	v_fmac_f32_e32 v1, v15, v15
.Ltmp92:
	.loc	1 46 40                         ; groupnorm_aot.py:46:40
	v_cndmask_b32_e64 v12, 0, v22, s[88:89]
	v_readlane_b32 s88, v255, 38
	v_readlane_b32 s89, v255, 39
	.loc	1 46 34 is_stmt 0               ; groupnorm_aot.py:46:34
	v_sub_f32_e32 v26, v26, v0
.Ltmp93:
	.loc	2 263 15 is_stmt 1              ; standard.py:263:15 @[ standard.py:293:36 @[ groupnorm_aot.py:48:17 ] ]
	v_fmac_f32_e32 v1, v14, v14
.Ltmp94:
	.loc	1 46 40                         ; groupnorm_aot.py:46:40
	v_cndmask_b32_e64 v11, 0, v25, s[88:89]
	v_readlane_b32 s88, v255, 40
	v_readlane_b32 s89, v255, 41
.Ltmp95:
	.loc	2 263 15                        ; standard.py:263:15 @[ standard.py:293:36 @[ groupnorm_aot.py:48:17 ] ]
	v_fmac_f32_e32 v1, v13, v13
.Ltmp96:
	.loc	1 46 34                         ; groupnorm_aot.py:46:34
	v_sub_f32_e32 v29, v29, v0
	.loc	1 46 40 is_stmt 0               ; groupnorm_aot.py:46:40
	v_cndmask_b32_e64 v10, 0, v24, s[88:89]
	v_readlane_b32 s88, v255, 42
	v_readlane_b32 s89, v255, 43
.Ltmp97:
	.loc	2 263 15 is_stmt 1              ; standard.py:263:15 @[ standard.py:293:36 @[ groupnorm_aot.py:48:17 ] ]
	v_fmac_f32_e32 v1, v12, v12
	v_fmac_f32_e32 v1, v11, v11
.Ltmp98:
	.loc	1 46 40                         ; groupnorm_aot.py:46:40
	v_cndmask_b32_e64 v9, 0, v27, s[88:89]
	v_readlane_b32 s88, v255, 44
	v_readlane_b32 s89, v255, 45
	.loc	1 46 34 is_stmt 0               ; groupnorm_aot.py:46:34
	v_sub_f32_e32 v28, v28, v0
.Ltmp99:
	.loc	2 263 15 is_stmt 1              ; standard.py:263:15 @[ standard.py:293:36 @[ groupnorm_aot.py:48:17 ] ]
	v_fmac_f32_e32 v1, v10, v10
.Ltmp100:
	.loc	1 46 40                         ; groupnorm_aot.py:46:40
	v_cndmask_b32_e64 v8, 0, v26, s[88:89]
	v_readlane_b32 s88, v255, 46
	v_readlane_b32 s89, v255, 47
.Ltmp101:
	.loc	2 263 15                        ; standard.py:263:15 @[ standard.py:293:36 @[ groupnorm_aot.py:48:17 ] ]
	v_fmac_f32_e32 v1, v9, v9
.Ltmp102:
	.loc	1 46 34                         ; groupnorm_aot.py:46:34
	v_sub_f32_e32 v31, v31, v0
	.loc	1 46 40 is_stmt 0               ; groupnorm_aot.py:46:40
	v_cndmask_b32_e64 v7, 0, v29, s[88:89]
	v_readlane_b32 s88, v255, 48
	v_readlane_b32 s89, v255, 49
.Ltmp103:
	.loc	2 263 15 is_stmt 1              ; standard.py:263:15 @[ standard.py:293:36 @[ groupnorm_aot.py:48:17 ] ]
	v_fmac_f32_e32 v1, v8, v8
	v_fmac_f32_e32 v1, v7, v7
.Ltmp104:
	.loc	1 46 40                         ; groupnorm_aot.py:46:40
	v_cndmask_b32_e64 v6, 0, v28, s[88:89]
	v_readlane_b32 s88, v255, 50
	v_readlane_b32 s89, v255, 51
	.loc	1 46 34 is_stmt 0               ; groupnorm_aot.py:46:34
	v_sub_f32_e32 v30, v30, v0
.Ltmp105:
	.loc	2 263 15 is_stmt 1              ; standard.py:263:15 @[ standard.py:293:36 @[ groupnorm_aot.py:48:17 ] ]
	v_fmac_f32_e32 v1, v6, v6
.Ltmp106:
	.loc	1 46 40                         ; groupnorm_aot.py:46:40
	v_cndmask_b32_e64 v5, 0, v31, s[88:89]
	v_readlane_b32 s88, v255, 52
	v_readlane_b32 s89, v255, 53
.Ltmp107:
	.loc	2 263 15                        ; standard.py:263:15 @[ standard.py:293:36 @[ groupnorm_aot.py:48:17 ] ]
	v_fmac_f32_e32 v1, v5, v5
	v_accvgpr_write_b32 a75, v165
.Ltmp108:
	.loc	1 46 40                         ; groupnorm_aot.py:46:40
	v_cndmask_b32_e64 v4, 0, v30, s[88:89]
.Ltmp109:
	.loc	2 263 15                        ; standard.py:263:15 @[ standard.py:293:36 @[ groupnorm_aot.py:48:17 ] ]
	v_fmac_f32_e32 v1, v4, v4
	v_accvgpr_write_b32 a1, v4
	v_accvgpr_write_b32 a74, v164
	v_add_f32_dpp v1, v1, v1 row_shr:8 row_mask:0xf bank_mask:0xf bound_ctrl:1
	v_accvgpr_write_b32 a73, v151
	v_accvgpr_write_b32 a72, v150
	v_add_f32_dpp v1, v1, v1 row_shr:4 row_mask:0xf bank_mask:0xf bound_ctrl:1
	;; [unrolled: 3-line block ×4, first 2 shown]
.Ltmp110:
	.loc	2 293 36                        ; standard.py:293:36 @[ groupnorm_aot.py:48:17 ]
	v_mov_b32_e32 v4, v1
	v_accvgpr_write_b32 a67, v145
	v_accvgpr_write_b32 a66, v144
	v_mov_b32_dpp v4, v4 row_bcast:15 row_mask:0xa bank_mask:0xf bound_ctrl:1
.Ltmp111:
	.loc	2 263 15                        ; standard.py:263:15 @[ standard.py:293:36 @[ groupnorm_aot.py:48:17 ] ]
	v_add_f32_e32 v1, v4, v1
	v_accvgpr_write_b32 a65, v143
	v_accvgpr_write_b32 a64, v142
	v_add_f32_dpp v1, v1, v1 row_bcast:31 row_mask:0xf bank_mask:0xf bound_ctrl:1
	v_accvgpr_write_b32 a63, v141
	v_accvgpr_write_b32 a62, v140
	;; [unrolled: 1-line block ×28, first 2 shown]
.Ltmp112:
	.loc	2 293 36                        ; standard.py:293:36 @[ groupnorm_aot.py:48:17 ]
	v_readlane_b32 s33, v1, 63
	s_and_saveexec_b64 s[88:89], s[0:1]
; %bb.135:
	v_mov_b32_e32 v1, s15
	v_mov_b32_e32 v4, s33
	ds_write_b32 v1, v4
.Ltmp113:
; %bb.136:
	.loc	2 0 36 is_stmt 0                ; standard.py:0:36
	s_or_b64 exec, exec, s[88:89]
	.loc	1 48 17 is_stmt 1               ; groupnorm_aot.py:48:17
	v_mov_b32_e32 v1, 0
.Ltmp114:
	.loc	2 293 36                        ; standard.py:293:36 @[ groupnorm_aot.py:48:17 ]
	s_waitcnt lgkmcnt(0)
	s_barrier
	s_and_saveexec_b64 s[0:1], s[2:3]
; %bb.137:
	ds_read_b32 v1, v21
; %bb.138:
	.loc	2 0 36 is_stmt 0                ; standard.py:0:36
	s_or_b64 exec, exec, s[0:1]
	.loc	2 293 36                        ; standard.py:293:36 @[ groupnorm_aot.py:48:17 ]
	s_waitcnt lgkmcnt(0)
	v_mov_b32_e32 v4, v1
	s_nop 1
	v_mov_b32_dpp v4, v4 quad_perm:[2,3,0,1] row_mask:0xf bank_mask:0xf
.Ltmp115:
	.loc	2 263 15 is_stmt 1              ; standard.py:263:15 @[ standard.py:293:36 @[ groupnorm_aot.py:48:17 ] ]
	v_add_f32_e32 v1, v1, v4
.Ltmp116:
	.loc	2 293 36                        ; standard.py:293:36 @[ groupnorm_aot.py:48:17 ]
	v_mov_b32_e32 v4, v1
	s_nop 1
	v_mov_b32_dpp v4, v4 quad_perm:[1,0,3,2] row_mask:0xf bank_mask:0xf
	s_and_saveexec_b64 s[0:1], s[86:87]
; %bb.139:
	.loc	2 0 36 is_stmt 0                ; standard.py:0:36
	v_add_f32_e32 v1, v1, v4
	.loc	2 293 36                        ; standard.py:293:36 @[ groupnorm_aot.py:48:17 ]
	ds_write_b32 v21, v1
.Ltmp117:
; %bb.140:
	.loc	2 0 36                          ; standard.py:0:36
	s_or_b64 exec, exec, s[0:1]
	.loc	1 55 29 is_stmt 1               ; groupnorm_aot.py:55:29
	s_ashr_i32 s15, s14, 31
	s_lshl_b64 s[86:87], s[14:15], 2
	v_readlane_b32 s0, v253, 6
	v_readlane_b32 s1, v253, 7
	s_add_u32 s88, s0, s86
.Ltmp118:
	.loc	2 293 36                        ; standard.py:293:36 @[ groupnorm_aot.py:48:17 ]
	v_mov_b32_e32 v214, 0
.Ltmp119:
	.loc	1 55 29                         ; groupnorm_aot.py:55:29
	s_addc_u32 s89, s1, s87
	v_readlane_b32 s0, v253, 12
.Ltmp120:
	.loc	2 293 36                        ; standard.py:293:36 @[ groupnorm_aot.py:48:17 ]
	s_waitcnt lgkmcnt(0)
	s_barrier
	ds_read_b32 v234, v214
	v_readlane_b32 s1, v253, 13
.Ltmp121:
	.loc	1 55 25                         ; groupnorm_aot.py:55:25
	s_andn2_b64 vcc, exec, s[0:1]
	v_mov_b32_e32 v235, 0
	v_cndmask_b32_e64 v1, 0, 1, s[0:1]
	v_cmp_ne_u32_e64 s[2:3], 1, v1
	s_nop 1
	v_writelane_b32 v253, s2, 6
	s_nop 1
	v_writelane_b32 v253, s3, 7
	s_cbranch_vccnz .LBB0_142
; %bb.141:
	.loc	1 0 25 is_stmt 0                ; groupnorm_aot.py:0:25
	v_mov_b32_e32 v1, 0
	.loc	1 55 25                         ; groupnorm_aot.py:55:25
	global_load_dword v235, v1, s[88:89] offset:-4
.LBB0_142:
	.loc	1 0 25                          ; groupnorm_aot.py:0:25
	v_readlane_b32 s0, v253, 16
	v_readlane_b32 s1, v253, 17
	.loc	1 55 25                         ; groupnorm_aot.py:55:25
	s_andn2_b64 vcc, exec, s[0:1]
	s_nop 0
	v_cndmask_b32_e64 v1, 0, 1, s[0:1]
	v_cmp_ne_u32_e64 s[2:3], 1, v1
	s_nop 1
	v_writelane_b32 v253, s2, 12
	s_nop 1
	v_writelane_b32 v253, s3, 13
	s_cbranch_vccnz .LBB0_144
; %bb.143:
	v_mov_b32_e32 v1, 0
	global_load_dword v214, v1, s[88:89]
.LBB0_144:
	.loc	1 0 25                          ; groupnorm_aot.py:0:25
	v_readlane_b32 s0, v253, 20
	v_readlane_b32 s1, v253, 21
	.loc	1 55 25                         ; groupnorm_aot.py:55:25
	v_mov_b32_e32 v224, 0
	s_andn2_b64 vcc, exec, s[0:1]
	v_cndmask_b32_e64 v1, 0, 1, s[0:1]
	v_cmp_ne_u32_e64 s[2:3], 1, v1
	v_mov_b32_e32 v239, 0
	s_nop 0
	v_writelane_b32 v253, s2, 16
	s_nop 1
	v_writelane_b32 v253, s3, 17
	s_cbranch_vccnz .LBB0_146
; %bb.145:
	v_mov_b32_e32 v1, 0
	global_load_dword v239, v1, s[88:89] offset:4
.LBB0_146:
	.loc	1 0 25                          ; groupnorm_aot.py:0:25
	v_readlane_b32 s0, v253, 24
	v_readlane_b32 s1, v253, 25
	.loc	1 55 25                         ; groupnorm_aot.py:55:25
	s_andn2_b64 vcc, exec, s[0:1]
	s_nop 0
	v_cndmask_b32_e64 v1, 0, 1, s[0:1]
	v_cmp_ne_u32_e64 s[2:3], 1, v1
	s_nop 1
	v_writelane_b32 v253, s2, 20
	s_nop 1
	v_writelane_b32 v253, s3, 21
	s_cbranch_vccnz .LBB0_148
; %bb.147:
	v_mov_b32_e32 v1, 0
	global_load_dword v224, v1, s[88:89] offset:8
.LBB0_148:
	.loc	1 0 25                          ; groupnorm_aot.py:0:25
	v_readlane_b32 s0, v253, 28
	v_readlane_b32 s1, v253, 29
	.loc	1 55 25                         ; groupnorm_aot.py:55:25
	v_mov_b32_e32 v226, 0
	s_andn2_b64 vcc, exec, s[0:1]
	v_cndmask_b32_e64 v1, 0, 1, s[0:1]
	v_cmp_ne_u32_e64 s[2:3], 1, v1
	v_mov_b32_e32 v242, 0
	s_nop 0
	v_writelane_b32 v253, s2, 24
	s_nop 1
	v_writelane_b32 v253, s3, 25
	s_cbranch_vccnz .LBB0_150
; %bb.149:
	v_mov_b32_e32 v1, 0
	global_load_dword v242, v1, s[88:89] offset:12
.LBB0_150:
	.loc	1 0 25                          ; groupnorm_aot.py:0:25
	v_readlane_b32 s0, v253, 32
	v_readlane_b32 s1, v253, 33
	.loc	1 55 25                         ; groupnorm_aot.py:55:25
	s_andn2_b64 vcc, exec, s[0:1]
	s_nop 0
	v_cndmask_b32_e64 v1, 0, 1, s[0:1]
	v_cmp_ne_u32_e64 s[2:3], 1, v1
	s_nop 1
	v_writelane_b32 v253, s2, 28
	s_nop 1
	v_writelane_b32 v253, s3, 29
	s_cbranch_vccnz .LBB0_152
; %bb.151:
	v_mov_b32_e32 v1, 0
	global_load_dword v226, v1, s[88:89] offset:16
.LBB0_152:
	;; [unrolled: 35-line block ×9, first 2 shown]
	.loc	1 0 25                          ; groupnorm_aot.py:0:25
	v_readlane_b32 s0, v254, 28
	v_readlane_b32 s1, v254, 29
	.loc	1 55 25                         ; groupnorm_aot.py:55:25
	v_mov_b32_e32 v250, 0
	s_andn2_b64 vcc, exec, s[0:1]
	v_cndmask_b32_e64 v4, 0, 1, s[0:1]
	v_cmp_ne_u32_e64 s[2:3], 1, v4
	v_mov_b32_e32 v135, 0
	s_nop 0
	v_writelane_b32 v254, s2, 24
	s_nop 1
	v_writelane_b32 v254, s3, 25
	s_cbranch_vccnz .LBB0_182
; %bb.181:
	v_mov_b32_e32 v4, 0
	global_load_dword v135, v4, s[88:89] offset:76
.LBB0_182:
	v_cndmask_b32_e64 v4, 0, 1, s[90:91]
	v_cmp_ne_u32_e64 s[0:1], 1, v4
	s_andn2_b64 vcc, exec, s[90:91]
	s_nop 0
	v_writelane_b32 v254, s0, 28
	s_nop 1
	v_writelane_b32 v254, s1, 29
	s_cbranch_vccnz .LBB0_184
; %bb.183:
	v_mov_b32_e32 v4, 0
	global_load_dword v250, v4, s[88:89] offset:80
.LBB0_184:
	v_cndmask_b32_e64 v4, 0, 1, s[92:93]
	v_cmp_ne_u32_e64 s[90:91], 1, v4
	v_mov_b32_e32 v247, 0
	s_andn2_b64 vcc, exec, s[92:93]
	v_mov_b32_e32 v134, 0
	s_cbranch_vccnz .LBB0_186
; %bb.185:
	v_mov_b32_e32 v4, 0
	global_load_dword v134, v4, s[88:89] offset:84
.LBB0_186:
	v_cndmask_b32_e64 v4, 0, 1, s[94:95]
	v_cmp_ne_u32_e64 s[92:93], 1, v4
	s_andn2_b64 vcc, exec, s[94:95]
	s_cbranch_vccnz .LBB0_188
; %bb.187:
	v_mov_b32_e32 v4, 0
	global_load_dword v247, v4, s[88:89] offset:88
.LBB0_188:
	v_cndmask_b32_e64 v4, 0, 1, s[96:97]
	v_cmp_ne_u32_e64 s[94:95], 1, v4
	v_mov_b32_e32 v241, 0
	s_andn2_b64 vcc, exec, s[96:97]
	v_mov_b32_e32 v131, 0
	s_cbranch_vccnz .LBB0_190
; %bb.189:
	v_mov_b32_e32 v4, 0
	global_load_dword v131, v4, s[88:89] offset:92
.LBB0_190:
	v_cndmask_b32_e64 v4, 0, 1, s[98:99]
	v_cmp_ne_u32_e64 s[96:97], 1, v4
	s_andn2_b64 vcc, exec, s[98:99]
	s_cbranch_vccnz .LBB0_192
; %bb.191:
	v_mov_b32_e32 v4, 0
	global_load_dword v241, v4, s[88:89] offset:96
.LBB0_192:
	v_cndmask_b32_e64 v4, 0, 1, s[48:49]
	v_cmp_ne_u32_e64 s[98:99], 1, v4
	v_mov_b32_e32 v236, 0
	s_andn2_b64 vcc, exec, s[48:49]
	v_mov_b32_e32 v252, 0
	s_cbranch_vccnz .LBB0_194
; %bb.193:
	v_mov_b32_e32 v4, 0
	global_load_dword v252, v4, s[88:89] offset:100
.LBB0_194:
	v_cndmask_b32_e64 v4, 0, 1, s[12:13]
	v_cmp_ne_u32_e64 s[48:49], 1, v4
	s_andn2_b64 vcc, exec, s[12:13]
	s_cbranch_vccnz .LBB0_196
; %bb.195:
	v_mov_b32_e32 v4, 0
	global_load_dword v236, v4, s[88:89] offset:104
.LBB0_196:
	v_cndmask_b32_e64 v4, 0, 1, s[10:11]
	v_cmp_ne_u32_e64 s[12:13], 1, v4
	v_mov_b32_e32 v231, 0
	s_andn2_b64 vcc, exec, s[10:11]
	v_mov_b32_e32 v249, 0
	s_cbranch_vccnz .LBB0_198
; %bb.197:
	v_mov_b32_e32 v4, 0
	global_load_dword v249, v4, s[88:89] offset:108
.LBB0_198:
	v_cndmask_b32_e64 v4, 0, 1, s[46:47]
	v_cmp_ne_u32_e64 s[10:11], 1, v4
	s_andn2_b64 vcc, exec, s[46:47]
	s_cbranch_vccnz .LBB0_200
; %bb.199:
	v_mov_b32_e32 v4, 0
	global_load_dword v231, v4, s[88:89] offset:112
.LBB0_200:
	v_cndmask_b32_e64 v4, 0, 1, s[8:9]
	v_cmp_ne_u32_e64 s[0:1], 1, v4
	v_mov_b32_e32 v227, 0
	s_andn2_b64 vcc, exec, s[8:9]
	v_mov_b32_e32 v244, 0
	s_cbranch_vccnz .LBB0_202
; %bb.201:
	v_mov_b32_e32 v4, 0
	global_load_dword v244, v4, s[88:89] offset:116
.LBB0_202:
	.loc	1 0 25                          ; groupnorm_aot.py:0:25
	v_accvgpr_write_b32 a28, v222
	.loc	1 55 25                         ; groupnorm_aot.py:55:25
	v_cndmask_b32_e64 v4, 0, 1, s[44:45]
	v_accvgpr_write_b32 a29, v223
	v_cmp_ne_u32_e64 s[46:47], 1, v4
	s_andn2_b64 vcc, exec, s[44:45]
	s_cbranch_vccnz .LBB0_204
; %bb.203:
	v_mov_b32_e32 v4, 0
	global_load_dword v227, v4, s[88:89] offset:120
.LBB0_204:
	v_cndmask_b32_e64 v4, 0, 1, s[18:19]
	v_cmp_ne_u32_e64 s[8:9], 1, v4
	v_mov_b32_e32 v223, 0
	s_andn2_b64 vcc, exec, s[18:19]
	v_mov_b32_e32 v238, 0
	s_cbranch_vccnz .LBB0_206
; %bb.205:
	v_mov_b32_e32 v4, 0
	global_load_dword v238, v4, s[88:89] offset:124
.LBB0_206:
	.loc	1 0 25                          ; groupnorm_aot.py:0:25
	v_accvgpr_write_b32 a26, v220
	.loc	1 55 25                         ; groupnorm_aot.py:55:25
	v_cndmask_b32_e64 v4, 0, 1, s[16:17]
	v_accvgpr_write_b32 a27, v221
	v_cmp_ne_u32_e64 s[14:15], 1, v4
	s_andn2_b64 vcc, exec, s[16:17]
	;; [unrolled: 22-line block ×4, first 2 shown]
	s_cbranch_vccnz .LBB0_216
; %bb.215:
	v_mov_b32_e32 v4, 0
	global_load_dword v219, v4, s[88:89] offset:144
.LBB0_216:
	v_cndmask_b32_e64 v4, 0, 1, s[28:29]
	v_cmp_ne_u32_e64 s[26:27], 1, v4
	v_mov_b32_e32 v217, 0
	s_andn2_b64 vcc, exec, s[28:29]
	v_mov_b32_e32 v225, 0
	s_cbranch_vccnz .LBB0_218
; %bb.217:
	v_mov_b32_e32 v4, 0
	global_load_dword v225, v4, s[88:89] offset:148
.LBB0_218:
	v_cndmask_b32_e64 v4, 0, 1, s[30:31]
	v_cmp_ne_u32_e64 s[28:29], 1, v4
	s_andn2_b64 vcc, exec, s[30:31]
	s_cbranch_vccnz .LBB0_220
; %bb.219:
	v_mov_b32_e32 v4, 0
	global_load_dword v217, v4, s[88:89] offset:152
.LBB0_220:
	v_cndmask_b32_e64 v4, 0, 1, s[34:35]
	v_cmp_ne_u32_e64 s[30:31], 1, v4
	v_mov_b32_e32 v215, 0
	s_andn2_b64 vcc, exec, s[34:35]
	v_mov_b32_e32 v222, 0
	s_cbranch_vccnz .LBB0_222
; %bb.221:
	v_mov_b32_e32 v4, 0
	global_load_dword v222, v4, s[88:89] offset:156
.LBB0_222:
	.loc	1 0 25                          ; groupnorm_aot.py:0:25
	v_accvgpr_write_b32 a20, v212
	.loc	1 55 25                         ; groupnorm_aot.py:55:25
	v_cndmask_b32_e64 v4, 0, 1, s[36:37]
	v_accvgpr_write_b32 a21, v213
	v_cmp_ne_u32_e64 s[34:35], 1, v4
	s_andn2_b64 vcc, exec, s[36:37]
	s_cbranch_vccnz .LBB0_224
; %bb.223:
	v_mov_b32_e32 v4, 0
	global_load_dword v215, v4, s[88:89] offset:160
.LBB0_224:
	v_cndmask_b32_e64 v4, 0, 1, s[38:39]
	v_cmp_ne_u32_e64 s[36:37], 1, v4
	v_mov_b32_e32 v212, 0
	s_andn2_b64 vcc, exec, s[38:39]
	v_mov_b32_e32 v220, 0
	s_cbranch_vccnz .LBB0_226
; %bb.225:
	v_mov_b32_e32 v4, 0
	global_load_dword v220, v4, s[88:89] offset:164
.LBB0_226:
	.loc	1 0 25                          ; groupnorm_aot.py:0:25
	v_accvgpr_write_b32 a18, v210
	.loc	1 55 25                         ; groupnorm_aot.py:55:25
	v_cndmask_b32_e64 v4, 0, 1, s[40:41]
	v_accvgpr_write_b32 a19, v211
	;; [unrolled: 22-line block ×8, first 2 shown]
	v_cmp_ne_u32_e64 s[60:61], 1, v4
	s_andn2_b64 vcc, exec, s[68:69]
	s_cbranch_vccnz .LBB0_252
; %bb.251:
	v_mov_b32_e32 v4, 0
	global_load_dword v200, v4, s[88:89] offset:216
.LBB0_252:
	v_cndmask_b32_e64 v4, 0, 1, s[70:71]
	v_cmp_ne_u32_e64 s[62:63], 1, v4
	v_mov_b32_e32 v198, 0
	s_andn2_b64 vcc, exec, s[70:71]
	v_mov_b32_e32 v205, 0
	s_cbranch_vccnz .LBB0_254
; %bb.253:
	v_mov_b32_e32 v4, 0
	global_load_dword v205, v4, s[88:89] offset:220
.LBB0_254:
	.loc	1 0 25                          ; groupnorm_aot.py:0:25
	v_accvgpr_write_b32 a4, v196
	v_accvgpr_write_b32 a2, v36
	.loc	1 55 25                         ; groupnorm_aot.py:55:25
	v_cndmask_b32_e64 v4, 0, 1, s[72:73]
	v_accvgpr_write_b32 a5, v197
	v_accvgpr_write_b32 a3, v37
	v_cmp_ne_u32_e64 s[64:65], 1, v4
	s_andn2_b64 vcc, exec, s[72:73]
	s_cbranch_vccnz .LBB0_256
; %bb.255:
	v_mov_b32_e32 v4, 0
	global_load_dword v198, v4, s[88:89] offset:224
.LBB0_256:
	v_cndmask_b32_e64 v4, 0, 1, s[74:75]
	v_cmp_ne_u32_e64 s[66:67], 1, v4
	v_mov_b32_e32 v197, 0
	s_andn2_b64 vcc, exec, s[74:75]
	v_mov_b32_e32 v203, 0
	s_cbranch_vccnz .LBB0_258
; %bb.257:
	v_mov_b32_e32 v4, 0
	global_load_dword v203, v4, s[88:89] offset:228
.LBB0_258:
	v_cndmask_b32_e64 v4, 0, 1, s[76:77]
	v_cmp_ne_u32_e64 s[68:69], 1, v4
	s_andn2_b64 vcc, exec, s[76:77]
	s_cbranch_vccnz .LBB0_260
; %bb.259:
	v_mov_b32_e32 v4, 0
	global_load_dword v197, v4, s[88:89] offset:232
.LBB0_260:
	v_cndmask_b32_e64 v4, 0, 1, s[78:79]
	v_cmp_ne_u32_e64 s[70:71], 1, v4
	v_mov_b32_e32 v196, 0
	s_andn2_b64 vcc, exec, s[78:79]
	v_mov_b32_e32 v201, 0
	s_cbranch_vccnz .LBB0_262
; %bb.261:
	v_mov_b32_e32 v4, 0
	global_load_dword v201, v4, s[88:89] offset:236
.LBB0_262:
	v_cndmask_b32_e64 v4, 0, 1, s[80:81]
	;; [unrolled: 18-line block ×3, first 2 shown]
	v_cmp_ne_u32_e64 s[76:77], 1, v4
	s_andn2_b64 vcc, exec, s[84:85]
	s_cbranch_vccnz .LBB0_268
; %bb.267:
	v_mov_b32_e32 v4, 0
	global_load_dword v195, v4, s[88:89] offset:248
.LBB0_268:
	.loc	1 0 25                          ; groupnorm_aot.py:0:25
	v_readlane_b32 s78, v253, 4
	.loc	1 59 23 is_stmt 1               ; groupnorm_aot.py:59:23
	v_readlane_b32 s80, v253, 6
	v_readlane_b32 s79, v253, 5
	.loc	1 59 27 is_stmt 0               ; groupnorm_aot.py:59:27
	s_add_u32 s78, s78, s86
	.loc	1 59 23                         ; groupnorm_aot.py:59:23
	v_readlane_b32 s81, v253, 7
	.loc	1 59 27                         ; groupnorm_aot.py:59:27
	s_addc_u32 s79, s79, s87
	.loc	1 59 23                         ; groupnorm_aot.py:59:23
	v_mov_b32_e32 v168, 0
	s_and_b64 vcc, exec, s[80:81]
	v_mov_b32_e32 v169, 0
	s_cbranch_vccnz .LBB0_270
; %bb.269:
	.loc	1 0 23                          ; groupnorm_aot.py:0:23
	v_mov_b32_e32 v4, 0
	.loc	1 59 23                         ; groupnorm_aot.py:59:23
	global_load_dword v169, v4, s[78:79] offset:-4
.LBB0_270:
	v_readlane_b32 s80, v253, 12
	v_readlane_b32 s81, v253, 13
	s_and_b64 vcc, exec, s[80:81]
	v_readlane_b32 s33, v255, 54
	s_cbranch_vccnz .LBB0_272
; %bb.271:
	v_mov_b32_e32 v4, 0
	global_load_dword v168, v4, s[78:79]
.LBB0_272:
	v_readlane_b32 s80, v253, 16
	v_readlane_b32 s81, v253, 17
	v_mov_b32_e32 v29, 0
	s_and_b64 vcc, exec, s[80:81]
	v_mov_b32_e32 v33, 0
	s_cbranch_vccnz .LBB0_274
; %bb.273:
	v_mov_b32_e32 v4, 0
	global_load_dword v33, v4, s[78:79] offset:4
.LBB0_274:
	v_readlane_b32 s80, v253, 20
	v_readlane_b32 s81, v253, 21
	s_and_b64 vcc, exec, s[80:81]
	s_cbranch_vccnz .LBB0_276
; %bb.275:
	v_mov_b32_e32 v4, 0
	global_load_dword v29, v4, s[78:79] offset:8
.LBB0_276:
	v_readlane_b32 s80, v253, 24
	v_readlane_b32 s81, v253, 25
	v_mov_b32_e32 v167, 0
	s_and_b64 vcc, exec, s[80:81]
	v_mov_b32_e32 v32, 0
	s_cbranch_vccnz .LBB0_278
; %bb.277:
	v_mov_b32_e32 v4, 0
	global_load_dword v32, v4, s[78:79] offset:12
.LBB0_278:
	v_readlane_b32 s80, v253, 28
	v_readlane_b32 s81, v253, 29
	s_and_b64 vcc, exec, s[80:81]
	s_cbranch_vccnz .LBB0_280
; %bb.279:
	v_mov_b32_e32 v4, 0
	global_load_dword v167, v4, s[78:79] offset:16
.LBB0_280:
	;; [unrolled: 18-line block ×9, first 2 shown]
	v_readlane_b32 s80, v254, 24
	v_readlane_b32 s81, v254, 25
	v_mov_b32_e32 v16, 0
	s_and_b64 vcc, exec, s[80:81]
	v_mov_b32_e32 v21, 0
	s_cbranch_vccnz .LBB0_310
; %bb.309:
	v_mov_b32_e32 v4, 0
	global_load_dword v21, v4, s[78:79] offset:76
.LBB0_310:
	v_readlane_b32 s80, v254, 28
	v_readlane_b32 s81, v254, 29
	s_and_b64 vcc, exec, s[80:81]
	s_cbranch_vccz .LBB0_486
; %bb.311:
	v_mov_b32_e32 v163, 0
	s_and_b64 vcc, exec, s[90:91]
	v_mov_b32_e32 v19, 0
	s_cbranch_vccz .LBB0_487
.LBB0_312:
	s_and_b64 vcc, exec, s[92:93]
	s_cbranch_vccz .LBB0_488
.LBB0_313:
	v_mov_b32_e32 v14, 0
	s_and_b64 vcc, exec, s[94:95]
	v_mov_b32_e32 v17, 0
	s_cbranch_vccz .LBB0_489
.LBB0_314:
	s_and_b64 vcc, exec, s[96:97]
	s_cbranch_vccz .LBB0_490
.LBB0_315:
	v_mov_b32_e32 v12, 0
	s_and_b64 vcc, exec, s[98:99]
	v_mov_b32_e32 v15, 0
	s_cbranch_vccz .LBB0_491
.LBB0_316:
	s_and_b64 vcc, exec, s[48:49]
	s_cbranch_vccz .LBB0_492
.LBB0_317:
	v_mov_b32_e32 v11, 0
	s_and_b64 vcc, exec, s[12:13]
	v_mov_b32_e32 v13, 0
	s_cbranch_vccz .LBB0_493
.LBB0_318:
	s_and_b64 vcc, exec, s[10:11]
	s_cbranch_vccz .LBB0_494
.LBB0_319:
	v_mov_b32_e32 v9, 0
	s_and_b64 vcc, exec, s[0:1]
	v_mov_b32_e32 v162, 0
	s_cbranch_vccz .LBB0_495
.LBB0_320:
	s_and_b64 vcc, exec, s[46:47]
	s_cbranch_vccz .LBB0_496
.LBB0_321:
	v_mov_b32_e32 v161, 0
	s_and_b64 vcc, exec, s[8:9]
	v_mov_b32_e32 v10, 0
	s_cbranch_vccz .LBB0_497
.LBB0_322:
	s_and_b64 vcc, exec, s[14:15]
	s_cbranch_vccz .LBB0_498
.LBB0_323:
	v_mov_b32_e32 v6, 0
	s_and_b64 vcc, exec, s[18:19]
	v_mov_b32_e32 v8, 0
	s_cbranch_vccz .LBB0_499
.LBB0_324:
	s_and_b64 vcc, exec, s[20:21]
	s_cbranch_vccz .LBB0_500
.LBB0_325:
	v_mov_b32_e32 v5, 0
	s_and_b64 vcc, exec, s[22:23]
	v_mov_b32_e32 v7, 0
	s_cbranch_vccz .LBB0_501
.LBB0_326:
	s_and_b64 vcc, exec, s[24:25]
	s_cbranch_vccz .LBB0_502
.LBB0_327:
	v_mov_b32_e32 v159, 0
	s_and_b64 vcc, exec, s[26:27]
	v_mov_b32_e32 v160, 0
	s_cbranch_vccz .LBB0_503
.LBB0_328:
	s_and_b64 vcc, exec, s[28:29]
	s_cbranch_vccz .LBB0_504
.LBB0_329:
	v_mov_b32_e32 v157, 0
	s_and_b64 vcc, exec, s[30:31]
	v_mov_b32_e32 v4, 0
	s_cbranch_vccz .LBB0_505
.LBB0_330:
	s_and_b64 vcc, exec, s[34:35]
	s_cbranch_vccz .LBB0_506
.LBB0_331:
	v_mov_b32_e32 v155, 0
	s_and_b64 vcc, exec, s[36:37]
	v_mov_b32_e32 v158, 0
	s_cbranch_vccz .LBB0_507
.LBB0_332:
	s_and_b64 vcc, exec, s[38:39]
	s_cbranch_vccz .LBB0_508
.LBB0_333:
	v_mov_b32_e32 v153, 0
	s_and_b64 vcc, exec, s[40:41]
	v_mov_b32_e32 v156, 0
	s_cbranch_vccz .LBB0_509
.LBB0_334:
	s_and_b64 vcc, exec, s[42:43]
	s_cbranch_vccz .LBB0_510
.LBB0_335:
	v_mov_b32_e32 v151, 0
	s_and_b64 vcc, exec, s[44:45]
	v_mov_b32_e32 v154, 0
	s_cbranch_vccz .LBB0_511
.LBB0_336:
	s_and_b64 vcc, exec, s[2:3]
	s_cbranch_vccz .LBB0_512
.LBB0_337:
	v_mov_b32_e32 v149, 0
	s_and_b64 vcc, exec, s[16:17]
	v_mov_b32_e32 v152, 0
	s_cbranch_vccz .LBB0_513
.LBB0_338:
	s_and_b64 vcc, exec, s[6:7]
	s_cbranch_vccz .LBB0_514
.LBB0_339:
	v_mov_b32_e32 v147, 0
	s_and_b64 vcc, exec, s[50:51]
	v_mov_b32_e32 v150, 0
	s_cbranch_vccz .LBB0_515
.LBB0_340:
	s_and_b64 vcc, exec, s[52:53]
	s_cbranch_vccz .LBB0_516
.LBB0_341:
	v_mov_b32_e32 v145, 0
	s_and_b64 vcc, exec, s[54:55]
	v_mov_b32_e32 v148, 0
	s_cbranch_vccz .LBB0_517
.LBB0_342:
	s_and_b64 vcc, exec, s[56:57]
	s_cbranch_vccz .LBB0_518
.LBB0_343:
	v_mov_b32_e32 v143, 0
	s_and_b64 vcc, exec, s[58:59]
	v_mov_b32_e32 v146, 0
	s_cbranch_vccz .LBB0_519
.LBB0_344:
	s_and_b64 vcc, exec, s[60:61]
	s_cbranch_vccz .LBB0_520
.LBB0_345:
	v_mov_b32_e32 v141, 0
	s_and_b64 vcc, exec, s[62:63]
	v_mov_b32_e32 v144, 0
	s_cbranch_vccz .LBB0_521
.LBB0_346:
	s_and_b64 vcc, exec, s[64:65]
	s_cbranch_vccz .LBB0_522
.LBB0_347:
	v_mov_b32_e32 v139, 0
	s_and_b64 vcc, exec, s[66:67]
	v_mov_b32_e32 v142, 0
	s_cbranch_vccz .LBB0_523
.LBB0_348:
	s_and_b64 vcc, exec, s[68:69]
	s_cbranch_vccz .LBB0_524
.LBB0_349:
	v_mov_b32_e32 v137, 0
	s_and_b64 vcc, exec, s[70:71]
	v_mov_b32_e32 v140, 0
	s_cbranch_vccz .LBB0_525
.LBB0_350:
	s_and_b64 vcc, exec, s[72:73]
	s_cbranch_vccz .LBB0_526
.LBB0_351:
	v_mov_b32_e32 v136, 0
	s_and_b64 vcc, exec, s[74:75]
	v_mov_b32_e32 v138, 0
	s_cbranch_vccnz .LBB0_353
.LBB0_352:
	v_mov_b32_e32 v138, 0
	global_load_dword v138, v138, s[78:79] offset:244
.LBB0_353:
	.loc	1 0 23                          ; groupnorm_aot.py:0:23
	v_readlane_b32 s0, v253, 8
	v_readlane_b32 s1, v253, 9
	s_load_dword s0, s[0:1], 0x40
	v_accvgpr_write_b32 a0, v34
	.loc	1 59 23                         ; groupnorm_aot.py:59:23
	s_and_b64 vcc, exec, s[76:77]
	s_cbranch_vccnz .LBB0_355
; %bb.354:
	v_mov_b32_e32 v136, 0
	global_load_dword v136, v136, s[78:79] offset:248
.LBB0_355:
	.loc	1 48 26 is_stmt 1               ; groupnorm_aot.py:48:26
	s_waitcnt lgkmcnt(0)
	v_div_scale_f32 v34, s[2:3], v188, v188, v234
	v_rcp_f32_e32 v35, v34
	v_div_scale_f32 v170, vcc, v234, v188, v234
	v_fma_f32 v36, -v34, v35, 1.0
	v_fmac_f32_e32 v35, v36, v35
	v_mul_f32_e32 v36, v170, v35
	v_fma_f32 v37, -v34, v36, v170
	v_fmac_f32_e32 v36, v37, v35
	v_fma_f32 v34, -v34, v36, v170
	v_div_fmas_f32 v34, v34, v35, v36
	v_div_fixup_f32 v34, v34, v188, v234
	.loc	1 49 23                         ; groupnorm_aot.py:49:23
	v_add_f32_e32 v34, s0, v34
	s_mov_b32 s0, 0x800000
	.loc	1 49 17 is_stmt 0               ; groupnorm_aot.py:49:17
	v_mul_f32_e32 v35, 0x4b800000, v34
	v_cmp_gt_f32_e32 vcc, s0, v34
	s_nop 1
	v_cndmask_b32_e32 v34, v34, v35, vcc
	v_rsq_f32_e32 v34, v34
	s_nop 0
	v_mul_f32_e32 v35, 0x45800000, v34
	v_cndmask_b32_e32 v188, v34, v35, vcc
	.loc	1 62 20 is_stmt 1               ; groupnorm_aot.py:62:20
	s_mov_b64 s[0:1], exec
	v_readlane_b32 s2, v253, 14
	v_readlane_b32 s3, v253, 15
	s_and_b64 s[2:3], s[0:1], s[2:3]
	s_mov_b64 exec, s[2:3]
	s_cbranch_execz .LBB0_357
; %bb.356:
	.loc	1 50 16                         ; groupnorm_aot.py:50:16
	v_mul_f32_e32 v34, v194, v188
	.loc	1 42 16                         ; groupnorm_aot.py:42:16
	v_lshl_add_u64 v[2:3], v[2:3], 2, s[4:5]
	s_waitcnt vmcnt(0)
	v_fmac_f32_e32 v169, v34, v235
	.loc	1 62 20                         ; groupnorm_aot.py:62:20
	global_store_dword v[2:3], v169, off
.LBB0_357:
	.loc	1 0 20 is_stmt 0                ; groupnorm_aot.py:0:20
	s_or_b64 exec, exec, s[0:1]
	.loc	1 62 20                         ; groupnorm_aot.py:62:20
	s_mov_b64 s[0:1], exec
	v_readlane_b32 s2, v253, 18
	v_readlane_b32 s3, v253, 19
	s_and_b64 s[2:3], s[0:1], s[2:3]
	s_mov_b64 exec, s[2:3]
	s_cbranch_execz .LBB0_359
; %bb.358:
	.loc	1 50 16 is_stmt 1               ; groupnorm_aot.py:50:16
	v_mul_f32_e32 v2, v193, v188
	.loc	1 60 29                         ; groupnorm_aot.py:60:29
	s_waitcnt vmcnt(0)
	v_fmac_f32_e32 v168, v2, v214
	v_accvgpr_read_b32 v2, a2
	v_accvgpr_read_b32 v3, a3
	.loc	1 42 16                         ; groupnorm_aot.py:42:16
	v_lshl_add_u64 v[2:3], v[2:3], 2, s[4:5]
	.loc	1 62 20                         ; groupnorm_aot.py:62:20
	global_store_dword v[2:3], v168, off
.LBB0_359:
	.loc	1 0 20 is_stmt 0                ; groupnorm_aot.py:0:20
	s_or_b64 exec, exec, s[0:1]
	.loc	1 62 20                         ; groupnorm_aot.py:62:20
	s_mov_b64 s[0:1], exec
	v_readlane_b32 s2, v253, 22
	v_readlane_b32 s3, v253, 23
	s_and_b64 s[2:3], s[0:1], s[2:3]
	v_accvgpr_read_b32 v34, a0
	s_mov_b64 exec, s[2:3]
	s_cbranch_execz .LBB0_361
; %bb.360:
	.loc	1 50 16 is_stmt 1               ; groupnorm_aot.py:50:16
	v_mul_f32_e32 v2, v192, v188
	.loc	1 60 29                         ; groupnorm_aot.py:60:29
	s_waitcnt vmcnt(0)
	v_fmac_f32_e32 v33, v2, v239
	v_accvgpr_read_b32 v2, a4
	v_accvgpr_read_b32 v3, a5
	.loc	1 42 16                         ; groupnorm_aot.py:42:16
	v_lshl_add_u64 v[2:3], v[2:3], 2, s[4:5]
	.loc	1 62 20                         ; groupnorm_aot.py:62:20
	global_store_dword v[2:3], v33, off
.LBB0_361:
	.loc	1 0 20 is_stmt 0                ; groupnorm_aot.py:0:20
	s_or_b64 exec, exec, s[0:1]
	.loc	1 62 20                         ; groupnorm_aot.py:62:20
	s_mov_b64 s[0:1], exec
	v_readlane_b32 s2, v253, 26
	v_readlane_b32 s3, v253, 27
	s_and_b64 s[2:3], s[0:1], s[2:3]
	s_mov_b64 exec, s[2:3]
	s_cbranch_execz .LBB0_363
; %bb.362:
	.loc	1 50 16 is_stmt 1               ; groupnorm_aot.py:50:16
	v_mul_f32_e32 v2, v191, v188
	.loc	1 60 29                         ; groupnorm_aot.py:60:29
	s_waitcnt vmcnt(0)
	v_fmac_f32_e32 v29, v2, v224
	v_accvgpr_read_b32 v2, a6
	v_accvgpr_read_b32 v3, a7
	.loc	1 42 16                         ; groupnorm_aot.py:42:16
	v_lshl_add_u64 v[2:3], v[2:3], 2, s[4:5]
	.loc	1 62 20                         ; groupnorm_aot.py:62:20
	global_store_dword v[2:3], v29, off
.LBB0_363:
	.loc	1 0 20 is_stmt 0                ; groupnorm_aot.py:0:20
	s_or_b64 exec, exec, s[0:1]
	.loc	1 62 20                         ; groupnorm_aot.py:62:20
	s_mov_b64 s[0:1], exec
	v_readlane_b32 s2, v253, 30
	v_readlane_b32 s3, v253, 31
	s_and_b64 s[2:3], s[0:1], s[2:3]
	;; [unrolled: 22-line block ×11, first 2 shown]
	s_mov_b64 exec, s[2:3]
	s_cbranch_execz .LBB0_383
; %bb.382:
	.loc	1 0 20                          ; groupnorm_aot.py:0:20
	v_accvgpr_read_b32 v2, a26
	.loc	1 50 16 is_stmt 1               ; groupnorm_aot.py:50:16
	s_waitcnt vmcnt(0)
	v_mul_f32_e32 v1, v180, v188
	v_accvgpr_read_b32 v3, a27
	.loc	1 60 29                         ; groupnorm_aot.py:60:29
	v_fmac_f32_e32 v165, v1, v237
	.loc	1 42 16                         ; groupnorm_aot.py:42:16
	v_lshl_add_u64 v[2:3], v[2:3], 2, s[4:5]
	.loc	1 62 20                         ; groupnorm_aot.py:62:20
	global_store_dword v[2:3], v165, off
.LBB0_383:
	.loc	1 0 20 is_stmt 0                ; groupnorm_aot.py:0:20
	s_or_b64 exec, exec, s[0:1]
	.loc	1 62 20                         ; groupnorm_aot.py:62:20
	s_mov_b64 s[0:1], exec
	v_readlane_b32 s2, v254, 6
	v_readlane_b32 s3, v254, 7
	s_and_b64 s[2:3], s[0:1], s[2:3]
	s_mov_b64 exec, s[2:3]
	s_cbranch_execz .LBB0_385
; %bb.384:
	.loc	1 0 20                          ; groupnorm_aot.py:0:20
	v_accvgpr_read_b32 v2, a28
	.loc	1 50 16 is_stmt 1               ; groupnorm_aot.py:50:16
	s_waitcnt vmcnt(0)
	v_mul_f32_e32 v1, v179, v188
	v_accvgpr_read_b32 v3, a29
	.loc	1 60 29                         ; groupnorm_aot.py:60:29
	v_fmac_f32_e32 v25, v1, v130
	.loc	1 42 16                         ; groupnorm_aot.py:42:16
	v_lshl_add_u64 v[2:3], v[2:3], 2, s[4:5]
	.loc	1 62 20                         ; groupnorm_aot.py:62:20
	global_store_dword v[2:3], v25, off
.LBB0_385:
	.loc	1 0 20 is_stmt 0                ; groupnorm_aot.py:0:20
	s_or_b64 exec, exec, s[0:1]
	.loc	1 62 20                         ; groupnorm_aot.py:62:20
	s_mov_b64 s[0:1], exec
	v_readlane_b32 s2, v254, 10
	v_readlane_b32 s3, v254, 11
	s_and_b64 s[2:3], s[0:1], s[2:3]
	;; [unrolled: 23-line block ×5, first 2 shown]
	s_mov_b64 exec, s[2:3]
	s_cbranch_execz .LBB0_393
; %bb.392:
	.loc	1 50 16 is_stmt 1               ; groupnorm_aot.py:50:16
	s_waitcnt vmcnt(0)
	v_mul_f32_e32 v1, v175, v188
	.loc	1 60 29                         ; groupnorm_aot.py:60:29
	v_fmac_f32_e32 v22, v1, v133
	.loc	1 42 16                         ; groupnorm_aot.py:42:16
	v_lshl_add_u64 v[2:3], v[38:39], 2, s[4:5]
	.loc	1 62 20                         ; groupnorm_aot.py:62:20
	global_store_dword v[2:3], v22, off
.LBB0_393:
	.loc	1 0 20 is_stmt 0                ; groupnorm_aot.py:0:20
	s_or_b64 exec, exec, s[0:1]
	.loc	1 62 20                         ; groupnorm_aot.py:62:20
	s_mov_b64 s[0:1], exec
	v_readlane_b32 s2, v254, 26
	v_readlane_b32 s3, v254, 27
	s_and_b64 s[2:3], s[0:1], s[2:3]
	s_mov_b64 exec, s[2:3]
	s_cbranch_execz .LBB0_395
; %bb.394:
	.loc	1 50 16 is_stmt 1               ; groupnorm_aot.py:50:16
	s_waitcnt vmcnt(0)
	v_mul_f32_e32 v1, v174, v188
	.loc	1 60 29                         ; groupnorm_aot.py:60:29
	v_fmac_f32_e32 v164, v1, v246
	.loc	1 42 16                         ; groupnorm_aot.py:42:16
	v_lshl_add_u64 v[2:3], v[40:41], 2, s[4:5]
	.loc	1 62 20                         ; groupnorm_aot.py:62:20
	global_store_dword v[2:3], v164, off
.LBB0_395:
	.loc	1 0 20 is_stmt 0                ; groupnorm_aot.py:0:20
	s_or_b64 exec, exec, s[0:1]
	.loc	1 62 20                         ; groupnorm_aot.py:62:20
	s_mov_b64 s[0:1], exec
	v_readlane_b32 s2, v254, 30
	v_readlane_b32 s3, v254, 31
	s_and_b64 s[2:3], s[0:1], s[2:3]
	;; [unrolled: 20-line block ×5, first 2 shown]
	s_mov_b64 exec, s[2:3]
	s_cbranch_execz .LBB0_403
; %bb.402:
	.loc	1 0 20                          ; groupnorm_aot.py:0:20
	s_waitcnt vmcnt(0)
	v_accvgpr_read_b32 v1, a75
	.loc	1 50 16 is_stmt 1               ; groupnorm_aot.py:50:16
	v_mul_f32_e32 v1, v1, v188
	.loc	1 60 29                         ; groupnorm_aot.py:60:29
	v_fmac_f32_e32 v163, v1, v247
	.loc	1 42 16                         ; groupnorm_aot.py:42:16
	v_lshl_add_u64 v[2:3], v[48:49], 2, s[4:5]
	.loc	1 62 20                         ; groupnorm_aot.py:62:20
	global_store_dword v[2:3], v163, off
.LBB0_403:
	.loc	1 0 20 is_stmt 0                ; groupnorm_aot.py:0:20
	s_or_b64 exec, exec, s[0:1]
	.loc	1 62 20                         ; groupnorm_aot.py:62:20
	s_mov_b64 s[0:1], exec
	v_readlane_b32 s2, v254, 38
	v_readlane_b32 s3, v254, 39
	s_and_b64 s[2:3], s[0:1], s[2:3]
	s_mov_b64 exec, s[2:3]
	s_cbranch_execz .LBB0_405
; %bb.404:
	.loc	1 0 20                          ; groupnorm_aot.py:0:20
	s_waitcnt vmcnt(0)
	v_accvgpr_read_b32 v1, a74
	.loc	1 50 16 is_stmt 1               ; groupnorm_aot.py:50:16
	v_mul_f32_e32 v1, v1, v188
	.loc	1 60 29                         ; groupnorm_aot.py:60:29
	v_fmac_f32_e32 v17, v1, v131
	.loc	1 42 16                         ; groupnorm_aot.py:42:16
	v_lshl_add_u64 v[2:3], v[50:51], 2, s[4:5]
	.loc	1 62 20                         ; groupnorm_aot.py:62:20
	global_store_dword v[2:3], v17, off
.LBB0_405:
	.loc	1 0 20 is_stmt 0                ; groupnorm_aot.py:0:20
	s_or_b64 exec, exec, s[0:1]
	.loc	1 62 20                         ; groupnorm_aot.py:62:20
	s_mov_b64 s[0:1], exec
	v_readlane_b32 s2, v254, 40
	v_readlane_b32 s3, v254, 41
	s_and_b64 s[2:3], s[0:1], s[2:3]
	;; [unrolled: 22-line block ×40, first 2 shown]
	s_mov_b64 exec, s[2:3]
	s_cbranch_execz .LBB0_483
; %bb.482:
	.loc	1 0 20                          ; groupnorm_aot.py:0:20
	s_waitcnt vmcnt(0)
	v_accvgpr_read_b32 v1, a1
	.loc	1 50 16 is_stmt 1               ; groupnorm_aot.py:50:16
	v_mul_f32_e32 v1, v1, v188
	.loc	1 60 29                         ; groupnorm_aot.py:60:29
	v_fmac_f32_e32 v136, v1, v195
	.loc	1 42 16                         ; groupnorm_aot.py:42:16
	v_lshl_add_u64 v[2:3], v[128:129], 2, s[4:5]
	.loc	1 62 20                         ; groupnorm_aot.py:62:20
	global_store_dword v[2:3], v136, off
.LBB0_483:
	.loc	1 0 20 is_stmt 0                ; groupnorm_aot.py:0:20
	s_or_b64 exec, exec, s[0:1]
	.loc	1 64 23 is_stmt 1               ; groupnorm_aot.py:64:23
	s_lshr_b32 s0, s33, 6
	.loc	1 63 23                         ; groupnorm_aot.py:63:23
	s_waitcnt vmcnt(0)
	v_or_b32_e32 v1, s0, v34
	v_cmp_eq_u32_e32 vcc, 0, v1
	s_and_saveexec_b64 s[0:1], vcc
	s_cbranch_execz .LBB0_485
; %bb.484:
	.loc	1 38 22                         ; groupnorm_aot.py:38:22
	v_readlane_b32 s0, v253, 10
	v_readlane_b32 s1, v253, 11
	s_lshl_b64 s[0:1], s[0:1], 2
	v_readlane_b32 s2, v253, 2
	v_readlane_b32 s3, v253, 3
	s_add_u32 s2, s2, s0
	s_addc_u32 s3, s3, s1
	v_readlane_b32 s4, v253, 0
	v_mov_b32_e32 v1, 0
	v_readlane_b32 s5, v253, 1
	.loc	1 39 22                         ; groupnorm_aot.py:39:22
	s_add_u32 s0, s4, s0
	s_addc_u32 s1, s5, s1
	.loc	1 63 23                         ; groupnorm_aot.py:63:23
	global_store_dword v1, v0, s[2:3]
	.loc	1 64 23                         ; groupnorm_aot.py:64:23
	global_store_dword v1, v188, s[0:1]
.LBB0_485:                              ; %.critedge
	.loc	1 64 4                          ; groupnorm_aot.py:64:4
	s_endpgm
.LBB0_486:
	.loc	1 59 23                         ; groupnorm_aot.py:59:23
	v_mov_b32_e32 v4, 0
	global_load_dword v16, v4, s[78:79] offset:80
	v_mov_b32_e32 v163, 0
	s_and_b64 vcc, exec, s[90:91]
	v_mov_b32_e32 v19, 0
	s_cbranch_vccnz .LBB0_312
.LBB0_487:
	v_mov_b32_e32 v4, 0
	global_load_dword v19, v4, s[78:79] offset:84
	s_and_b64 vcc, exec, s[92:93]
	s_cbranch_vccnz .LBB0_313
.LBB0_488:
	v_mov_b32_e32 v4, 0
	global_load_dword v163, v4, s[78:79] offset:88
	v_mov_b32_e32 v14, 0
	s_and_b64 vcc, exec, s[94:95]
	v_mov_b32_e32 v17, 0
	s_cbranch_vccnz .LBB0_314
.LBB0_489:
	v_mov_b32_e32 v4, 0
	global_load_dword v17, v4, s[78:79] offset:92
	s_and_b64 vcc, exec, s[96:97]
	s_cbranch_vccnz .LBB0_315
.LBB0_490:
	v_mov_b32_e32 v4, 0
	global_load_dword v14, v4, s[78:79] offset:96
	v_mov_b32_e32 v12, 0
	s_and_b64 vcc, exec, s[98:99]
	v_mov_b32_e32 v15, 0
	s_cbranch_vccnz .LBB0_316
.LBB0_491:
	v_mov_b32_e32 v4, 0
	global_load_dword v15, v4, s[78:79] offset:100
	s_and_b64 vcc, exec, s[48:49]
	s_cbranch_vccnz .LBB0_317
.LBB0_492:
	v_mov_b32_e32 v4, 0
	global_load_dword v12, v4, s[78:79] offset:104
	v_mov_b32_e32 v11, 0
	s_and_b64 vcc, exec, s[12:13]
	v_mov_b32_e32 v13, 0
	s_cbranch_vccnz .LBB0_318
.LBB0_493:
	v_mov_b32_e32 v4, 0
	global_load_dword v13, v4, s[78:79] offset:108
	s_and_b64 vcc, exec, s[10:11]
	s_cbranch_vccnz .LBB0_319
.LBB0_494:
	v_mov_b32_e32 v4, 0
	global_load_dword v11, v4, s[78:79] offset:112
	v_mov_b32_e32 v9, 0
	s_and_b64 vcc, exec, s[0:1]
	v_mov_b32_e32 v162, 0
	s_cbranch_vccnz .LBB0_320
.LBB0_495:
	v_mov_b32_e32 v4, 0
	global_load_dword v162, v4, s[78:79] offset:116
	s_and_b64 vcc, exec, s[46:47]
	s_cbranch_vccnz .LBB0_321
.LBB0_496:
	v_mov_b32_e32 v4, 0
	global_load_dword v9, v4, s[78:79] offset:120
	v_mov_b32_e32 v161, 0
	s_and_b64 vcc, exec, s[8:9]
	v_mov_b32_e32 v10, 0
	s_cbranch_vccnz .LBB0_322
.LBB0_497:
	v_mov_b32_e32 v4, 0
	global_load_dword v10, v4, s[78:79] offset:124
	s_and_b64 vcc, exec, s[14:15]
	s_cbranch_vccnz .LBB0_323
.LBB0_498:
	v_mov_b32_e32 v4, 0
	global_load_dword v161, v4, s[78:79] offset:128
	v_mov_b32_e32 v6, 0
	s_and_b64 vcc, exec, s[18:19]
	v_mov_b32_e32 v8, 0
	s_cbranch_vccnz .LBB0_324
.LBB0_499:
	v_mov_b32_e32 v4, 0
	global_load_dword v8, v4, s[78:79] offset:132
	s_and_b64 vcc, exec, s[20:21]
	s_cbranch_vccnz .LBB0_325
.LBB0_500:
	v_mov_b32_e32 v4, 0
	global_load_dword v6, v4, s[78:79] offset:136
	v_mov_b32_e32 v5, 0
	s_and_b64 vcc, exec, s[22:23]
	v_mov_b32_e32 v7, 0
	s_cbranch_vccnz .LBB0_326
.LBB0_501:
	v_mov_b32_e32 v4, 0
	global_load_dword v7, v4, s[78:79] offset:140
	s_and_b64 vcc, exec, s[24:25]
	s_cbranch_vccnz .LBB0_327
.LBB0_502:
	v_mov_b32_e32 v4, 0
	global_load_dword v5, v4, s[78:79] offset:144
	v_mov_b32_e32 v159, 0
	s_and_b64 vcc, exec, s[26:27]
	v_mov_b32_e32 v160, 0
	s_cbranch_vccnz .LBB0_328
.LBB0_503:
	v_mov_b32_e32 v4, 0
	global_load_dword v160, v4, s[78:79] offset:148
	s_and_b64 vcc, exec, s[28:29]
	s_cbranch_vccnz .LBB0_329
.LBB0_504:
	v_mov_b32_e32 v4, 0
	global_load_dword v159, v4, s[78:79] offset:152
	v_mov_b32_e32 v157, 0
	s_and_b64 vcc, exec, s[30:31]
	v_mov_b32_e32 v4, 0
	s_cbranch_vccnz .LBB0_330
.LBB0_505:
	v_mov_b32_e32 v4, 0
	global_load_dword v4, v4, s[78:79] offset:156
	s_and_b64 vcc, exec, s[34:35]
	s_cbranch_vccnz .LBB0_331
.LBB0_506:
	v_mov_b32_e32 v136, 0
	global_load_dword v157, v136, s[78:79] offset:160
	v_mov_b32_e32 v155, 0
	s_and_b64 vcc, exec, s[36:37]
	v_mov_b32_e32 v158, 0
	s_cbranch_vccnz .LBB0_332
.LBB0_507:
	v_mov_b32_e32 v136, 0
	global_load_dword v158, v136, s[78:79] offset:164
	s_and_b64 vcc, exec, s[38:39]
	s_cbranch_vccnz .LBB0_333
.LBB0_508:
	v_mov_b32_e32 v136, 0
	global_load_dword v155, v136, s[78:79] offset:168
	v_mov_b32_e32 v153, 0
	s_and_b64 vcc, exec, s[40:41]
	v_mov_b32_e32 v156, 0
	s_cbranch_vccnz .LBB0_334
.LBB0_509:
	v_mov_b32_e32 v136, 0
	global_load_dword v156, v136, s[78:79] offset:172
	s_and_b64 vcc, exec, s[42:43]
	s_cbranch_vccnz .LBB0_335
.LBB0_510:
	v_mov_b32_e32 v136, 0
	global_load_dword v153, v136, s[78:79] offset:176
	v_mov_b32_e32 v151, 0
	s_and_b64 vcc, exec, s[44:45]
	v_mov_b32_e32 v154, 0
	s_cbranch_vccnz .LBB0_336
.LBB0_511:
	v_mov_b32_e32 v136, 0
	global_load_dword v154, v136, s[78:79] offset:180
	s_and_b64 vcc, exec, s[2:3]
	s_cbranch_vccnz .LBB0_337
.LBB0_512:
	v_mov_b32_e32 v136, 0
	global_load_dword v151, v136, s[78:79] offset:184
	v_mov_b32_e32 v149, 0
	s_and_b64 vcc, exec, s[16:17]
	v_mov_b32_e32 v152, 0
	s_cbranch_vccnz .LBB0_338
.LBB0_513:
	v_mov_b32_e32 v136, 0
	global_load_dword v152, v136, s[78:79] offset:188
	s_and_b64 vcc, exec, s[6:7]
	s_cbranch_vccnz .LBB0_339
.LBB0_514:
	v_mov_b32_e32 v136, 0
	global_load_dword v149, v136, s[78:79] offset:192
	v_mov_b32_e32 v147, 0
	s_and_b64 vcc, exec, s[50:51]
	v_mov_b32_e32 v150, 0
	s_cbranch_vccnz .LBB0_340
.LBB0_515:
	v_mov_b32_e32 v136, 0
	global_load_dword v150, v136, s[78:79] offset:196
	s_and_b64 vcc, exec, s[52:53]
	s_cbranch_vccnz .LBB0_341
.LBB0_516:
	v_mov_b32_e32 v136, 0
	global_load_dword v147, v136, s[78:79] offset:200
	v_mov_b32_e32 v145, 0
	s_and_b64 vcc, exec, s[54:55]
	v_mov_b32_e32 v148, 0
	s_cbranch_vccnz .LBB0_342
.LBB0_517:
	v_mov_b32_e32 v136, 0
	global_load_dword v148, v136, s[78:79] offset:204
	s_and_b64 vcc, exec, s[56:57]
	s_cbranch_vccnz .LBB0_343
.LBB0_518:
	v_mov_b32_e32 v136, 0
	global_load_dword v145, v136, s[78:79] offset:208
	v_mov_b32_e32 v143, 0
	s_and_b64 vcc, exec, s[58:59]
	v_mov_b32_e32 v146, 0
	s_cbranch_vccnz .LBB0_344
.LBB0_519:
	v_mov_b32_e32 v136, 0
	global_load_dword v146, v136, s[78:79] offset:212
	s_and_b64 vcc, exec, s[60:61]
	s_cbranch_vccnz .LBB0_345
.LBB0_520:
	v_mov_b32_e32 v136, 0
	global_load_dword v143, v136, s[78:79] offset:216
	v_mov_b32_e32 v141, 0
	s_and_b64 vcc, exec, s[62:63]
	v_mov_b32_e32 v144, 0
	s_cbranch_vccnz .LBB0_346
.LBB0_521:
	v_mov_b32_e32 v136, 0
	global_load_dword v144, v136, s[78:79] offset:220
	s_and_b64 vcc, exec, s[64:65]
	s_cbranch_vccnz .LBB0_347
.LBB0_522:
	v_mov_b32_e32 v136, 0
	global_load_dword v141, v136, s[78:79] offset:224
	v_mov_b32_e32 v139, 0
	s_and_b64 vcc, exec, s[66:67]
	v_mov_b32_e32 v142, 0
	s_cbranch_vccnz .LBB0_348
.LBB0_523:
	v_mov_b32_e32 v136, 0
	global_load_dword v142, v136, s[78:79] offset:228
	s_and_b64 vcc, exec, s[68:69]
	s_cbranch_vccnz .LBB0_349
.LBB0_524:
	v_mov_b32_e32 v136, 0
	global_load_dword v139, v136, s[78:79] offset:232
	v_mov_b32_e32 v137, 0
	s_and_b64 vcc, exec, s[70:71]
	v_mov_b32_e32 v140, 0
	s_cbranch_vccnz .LBB0_350
.LBB0_525:
	v_mov_b32_e32 v136, 0
	global_load_dword v140, v136, s[78:79] offset:236
	s_and_b64 vcc, exec, s[72:73]
	s_cbranch_vccnz .LBB0_351
.LBB0_526:
	v_mov_b32_e32 v136, 0
	global_load_dword v137, v136, s[78:79] offset:240
	v_mov_b32_e32 v136, 0
	s_and_b64 vcc, exec, s[74:75]
	v_mov_b32_e32 v138, 0
	s_cbranch_vccz .LBB0_352
	s_branch .LBB0_353
.Ltmp122:
	.section	.rodata,"a",@progbits
	.p2align	6, 0x0
	.amdhsa_kernel group_norm_kernel
		.amdhsa_group_segment_fixed_size 0
		.amdhsa_private_segment_fixed_size 0
		.amdhsa_kernarg_size 88
		.amdhsa_user_sgpr_count 16
		.amdhsa_user_sgpr_dispatch_ptr 0
		.amdhsa_user_sgpr_queue_ptr 0
		.amdhsa_user_sgpr_kernarg_segment_ptr 1
		.amdhsa_user_sgpr_dispatch_id 0
		.amdhsa_user_sgpr_kernarg_preload_length 14
		.amdhsa_user_sgpr_kernarg_preload_offset 0
		.amdhsa_user_sgpr_private_segment_size 0
		.amdhsa_uses_dynamic_stack 0
		.amdhsa_enable_private_segment 0
		.amdhsa_system_sgpr_workgroup_id_x 1
		.amdhsa_system_sgpr_workgroup_id_y 0
		.amdhsa_system_sgpr_workgroup_id_z 0
		.amdhsa_system_sgpr_workgroup_info 0
		.amdhsa_system_vgpr_workitem_id 0
		.amdhsa_next_free_vgpr 332
		.amdhsa_next_free_sgpr 100
		.amdhsa_accum_offset 256
		.amdhsa_reserve_vcc 1
		.amdhsa_reserve_xnack_mask 1
		.amdhsa_float_round_mode_32 0
		.amdhsa_float_round_mode_16_64 0
		.amdhsa_float_denorm_mode_32 3
		.amdhsa_float_denorm_mode_16_64 3
		.amdhsa_dx10_clamp 1
		.amdhsa_ieee_mode 1
		.amdhsa_fp16_overflow 0
		.amdhsa_tg_split 0
		.amdhsa_exception_fp_ieee_invalid_op 0
		.amdhsa_exception_fp_denorm_src 0
		.amdhsa_exception_fp_ieee_div_zero 0
		.amdhsa_exception_fp_ieee_overflow 0
		.amdhsa_exception_fp_ieee_underflow 0
		.amdhsa_exception_fp_ieee_inexact 0
		.amdhsa_exception_int_div_zero 0
	.end_amdhsa_kernel
	.text
.Lfunc_end0:
	.size	group_norm_kernel, .Lfunc_end0-group_norm_kernel
	.cfi_endproc
                                        ; -- End function
	.set group_norm_kernel.num_vgpr, 256
	.set group_norm_kernel.num_agpr, 76
	.set group_norm_kernel.numbered_sgpr, 100
	.set group_norm_kernel.num_named_barrier, 0
	.set group_norm_kernel.private_seg_size, 0
	.set group_norm_kernel.uses_vcc, 1
	.set group_norm_kernel.uses_flat_scratch, 0
	.set group_norm_kernel.has_dyn_sized_stack, 0
	.set group_norm_kernel.has_recursion, 0
	.set group_norm_kernel.has_indirect_call, 0
	.section	.AMDGPU.csdata,"",@progbits
; Kernel info:
; codeLenInByte = 20892
; TotalNumSgprs: 106
; NumVgprs: 256
; NumAgprs: 76
; TotalNumVgprs: 332
; ScratchSize: 0
; MemoryBound: 0
; FloatMode: 240
; IeeeMode: 1
; LDSByteSize: 0 bytes/workgroup (compile time only)
; SGPRBlocks: 13
; VGPRBlocks: 41
; NumSGPRsForWavesPerEU: 106
; NumVGPRsForWavesPerEU: 332
; AccumOffset: 256
; Occupancy: 1
; WaveLimiterHint : 0
; COMPUTE_PGM_RSRC2:SCRATCH_EN: 0
; COMPUTE_PGM_RSRC2:USER_SGPR: 16
; COMPUTE_PGM_RSRC2:TRAP_HANDLER: 0
; COMPUTE_PGM_RSRC2:TGID_X_EN: 1
; COMPUTE_PGM_RSRC2:TGID_Y_EN: 0
; COMPUTE_PGM_RSRC2:TGID_Z_EN: 0
; COMPUTE_PGM_RSRC2:TIDIG_COMP_CNT: 0
; COMPUTE_PGM_RSRC3_GFX90A:ACCUM_OFFSET: 63
; COMPUTE_PGM_RSRC3_GFX90A:TG_SPLIT: 0
	.text
	.p2alignl 6, 3212836864
	.fill 256, 4, 3212836864
	.section	.AMDGPU.gpr_maximums,"",@progbits
	.set amdgpu.max_num_vgpr, 0
	.set amdgpu.max_num_agpr, 0
	.set amdgpu.max_num_sgpr, 0
	.set amdgpu.max_num_named_barrier, 0
	.text
	.section	.debug_abbrev,"",@progbits
	.byte	1                               ; Abbreviation Code
	.byte	17                              ; DW_TAG_compile_unit
	.byte	1                               ; DW_CHILDREN_yes
	.byte	37                              ; DW_AT_producer
	.byte	14                              ; DW_FORM_strp
	.byte	19                              ; DW_AT_language
	.byte	5                               ; DW_FORM_data2
	.byte	3                               ; DW_AT_name
	.byte	14                              ; DW_FORM_strp
	.byte	16                              ; DW_AT_stmt_list
	.byte	23                              ; DW_FORM_sec_offset
	.byte	27                              ; DW_AT_comp_dir
	.byte	14                              ; DW_FORM_strp
	.byte	17                              ; DW_AT_low_pc
	.byte	1                               ; DW_FORM_addr
	.byte	18                              ; DW_AT_high_pc
	.byte	6                               ; DW_FORM_data4
	.byte	0                               ; EOM(1)
	.byte	0                               ; EOM(2)
	.byte	2                               ; Abbreviation Code
	.byte	46                              ; DW_TAG_subprogram
	.byte	0                               ; DW_CHILDREN_no
	.byte	3                               ; DW_AT_name
	.byte	14                              ; DW_FORM_strp
	.byte	32                              ; DW_AT_inline
	.byte	11                              ; DW_FORM_data1
	.byte	0                               ; EOM(1)
	.byte	0                               ; EOM(2)
	.byte	3                               ; Abbreviation Code
	.byte	46                              ; DW_TAG_subprogram
	.byte	1                               ; DW_CHILDREN_yes
	.byte	17                              ; DW_AT_low_pc
	.byte	1                               ; DW_FORM_addr
	.byte	18                              ; DW_AT_high_pc
	.byte	6                               ; DW_FORM_data4
	.byte	49                              ; DW_AT_abstract_origin
	.byte	19                              ; DW_FORM_ref4
	.byte	0                               ; EOM(1)
	.byte	0                               ; EOM(2)
	.byte	4                               ; Abbreviation Code
	.byte	29                              ; DW_TAG_inlined_subroutine
	.byte	1                               ; DW_CHILDREN_yes
	.byte	49                              ; DW_AT_abstract_origin
	.byte	19                              ; DW_FORM_ref4
	.byte	85                              ; DW_AT_ranges
	.byte	23                              ; DW_FORM_sec_offset
	.byte	88                              ; DW_AT_call_file
	.byte	11                              ; DW_FORM_data1
	.byte	89                              ; DW_AT_call_line
	.byte	11                              ; DW_FORM_data1
	.byte	87                              ; DW_AT_call_column
	.byte	11                              ; DW_FORM_data1
	.byte	0                               ; EOM(1)
	.byte	0                               ; EOM(2)
	.byte	5                               ; Abbreviation Code
	.byte	29                              ; DW_TAG_inlined_subroutine
	.byte	0                               ; DW_CHILDREN_no
	.byte	49                              ; DW_AT_abstract_origin
	.byte	19                              ; DW_FORM_ref4
	.byte	85                              ; DW_AT_ranges
	.byte	23                              ; DW_FORM_sec_offset
	.byte	88                              ; DW_AT_call_file
	.byte	11                              ; DW_FORM_data1
	.byte	89                              ; DW_AT_call_line
	.byte	5                               ; DW_FORM_data2
	.byte	87                              ; DW_AT_call_column
	.byte	11                              ; DW_FORM_data1
	.byte	0                               ; EOM(1)
	.byte	0                               ; EOM(2)
	;; [unrolled: 1-line block ×3, first 2 shown]
	.section	.debug_info,"",@progbits
.Lcu_begin0:
	.long	.Ldebug_info_end0-.Ldebug_info_start0 ; Length of Unit
.Ldebug_info_start0:
	.short	4                               ; DWARF version number
	.long	.debug_abbrev                   ; Offset Into Abbrev. Section
	.byte	8                               ; Address Size (in bytes)
	.byte	1                               ; Abbrev [1] 0xb:0x6c DW_TAG_compile_unit
	.long	.Linfo_string0                  ; DW_AT_producer
	.short	2                               ; DW_AT_language
	.long	.Linfo_string1                  ; DW_AT_name
	.long	.Lline_table_start0             ; DW_AT_stmt_list
	.long	.Linfo_string2                  ; DW_AT_comp_dir
	.quad	.Lfunc_begin0                   ; DW_AT_low_pc
	.long	.Lfunc_end0-.Lfunc_begin0       ; DW_AT_high_pc
	.byte	2                               ; Abbrev [2] 0x2a:0x6 DW_TAG_subprogram
	.long	.Linfo_string3                  ; DW_AT_name
	.byte	1                               ; DW_AT_inline
	.byte	3                               ; Abbrev [3] 0x30:0x46 DW_TAG_subprogram
	.quad	.Lfunc_begin0                   ; DW_AT_low_pc
	.long	.Lfunc_end0-.Lfunc_begin0       ; DW_AT_high_pc
	.long	42                              ; DW_AT_abstract_origin
	.byte	4                               ; Abbrev [4] 0x41:0x1a DW_TAG_inlined_subroutine
	.long	42                              ; DW_AT_abstract_origin
	.long	.Ldebug_ranges0                 ; DW_AT_ranges
	.byte	1                               ; DW_AT_call_file
	.byte	45                              ; DW_AT_call_line
	.byte	18                              ; DW_AT_call_column
	.byte	5                               ; Abbrev [5] 0x4d:0xd DW_TAG_inlined_subroutine
	.long	42                              ; DW_AT_abstract_origin
	.long	.Ldebug_ranges1                 ; DW_AT_ranges
	.byte	2                               ; DW_AT_call_file
	.short	293                             ; DW_AT_call_line
	.byte	36                              ; DW_AT_call_column
	.byte	0                               ; End Of Children Mark
	.byte	4                               ; Abbrev [4] 0x5b:0x1a DW_TAG_inlined_subroutine
	.long	42                              ; DW_AT_abstract_origin
	.long	.Ldebug_ranges2                 ; DW_AT_ranges
	.byte	1                               ; DW_AT_call_file
	.byte	48                              ; DW_AT_call_line
	.byte	17                              ; DW_AT_call_column
	.byte	5                               ; Abbrev [5] 0x67:0xd DW_TAG_inlined_subroutine
	.long	42                              ; DW_AT_abstract_origin
	.long	.Ldebug_ranges3                 ; DW_AT_ranges
	.byte	2                               ; DW_AT_call_file
	.short	293                             ; DW_AT_call_line
	.byte	36                              ; DW_AT_call_column
	.byte	0                               ; End Of Children Mark
	.byte	0                               ; End Of Children Mark
	;; [unrolled: 1-line block ×3, first 2 shown]
.Ldebug_info_end0:
	.section	.debug_ranges,"",@progbits
.Ldebug_ranges0:
	.quad	.Ltmp2-.Lfunc_begin0
	.quad	.Ltmp12-.Lfunc_begin0
	;; [unrolled: 1-line block ×4, first 2 shown]
	.quad	0
	.quad	0
.Ldebug_ranges1:
	.quad	.Ltmp2-.Lfunc_begin0
	.quad	.Ltmp3-.Lfunc_begin0
	;; [unrolled: 1-line block ×12, first 2 shown]
	.quad	0
	.quad	0
.Ldebug_ranges2:
	.quad	.Ltmp17-.Lfunc_begin0
	.quad	.Ltmp18-.Lfunc_begin0
	;; [unrolled: 1-line block ×100, first 2 shown]
	.quad	0
	.quad	0
.Ldebug_ranges3:
	.quad	.Ltmp19-.Lfunc_begin0
	.quad	.Ltmp20-.Lfunc_begin0
	;; [unrolled: 1-line block ×96, first 2 shown]
	.quad	0
	.quad	0
	.section	.debug_str,"MS",@progbits,1
.Linfo_string0:
	.asciz	"triton"                        ; string offset=0
.Linfo_string1:
	.asciz	"groupnorm_aot.py"              ; string offset=7
.Linfo_string2:
	.asciz	"/root/src/amdgpu-assembly/repos/FlagOpen__FlagGems/triton_aot_kernels" ; string offset=24
.Linfo_string3:
	.asciz	"group_norm_kernel"             ; string offset=94
	.section	".note.GNU-stack","",@progbits
	.amdgpu_metadata
---
amdhsa.kernels:
  - .agpr_count:     76
    .args:
      - .address_space:  global
        .offset:         0
        .size:           8
        .value_kind:     global_buffer
      - .address_space:  global
        .offset:         8
        .size:           8
        .value_kind:     global_buffer
      - .address_space:  global
        .offset:         16
        .size:           8
        .value_kind:     global_buffer
      - .address_space:  global
        .offset:         24
        .size:           8
        .value_kind:     global_buffer
      - .address_space:  global
        .offset:         32
        .size:           8
        .value_kind:     global_buffer
      - .address_space:  global
        .offset:         40
        .size:           8
        .value_kind:     global_buffer
      - .offset:         48
        .size:           4
        .value_kind:     by_value
      - .offset:         52
        .size:           4
        .value_kind:     by_value
      - .offset:         56
        .size:           4
        .value_kind:     by_value
      - .offset:         60
        .size:           4
        .value_kind:     by_value
      - .offset:         64
        .size:           4
        .value_kind:     by_value
      - .address_space:  global
        .offset:         72
        .size:           8
        .value_kind:     global_buffer
      - .address_space:  global
        .offset:         80
        .size:           8
        .value_kind:     global_buffer
    .group_segment_fixed_size: 0
    .kernarg_segment_align: 8
    .kernarg_segment_size: 88
    .max_flat_workgroup_size: 256
    .name:           group_norm_kernel
    .private_segment_fixed_size: 0
    .sgpr_count:     106
    .sgpr_spill_count: 227
    .symbol:         group_norm_kernel.kd
    .uniform_work_group_size: 1
    .uses_dynamic_stack: false
    .vgpr_count:     332
    .vgpr_spill_count: 0
    .wavefront_size: 64
amdhsa.target:   amdgcn-amd-amdhsa--gfx950
amdhsa.version:
  - 1
  - 2
...

	.end_amdgpu_metadata
	.section	.debug_line,"",@progbits
.Lline_table_start0:
